;; amdgpu-corpus repo=ROCm/rocFFT kind=compiled arch=gfx1100 opt=O3
	.text
	.amdgcn_target "amdgcn-amd-amdhsa--gfx1100"
	.amdhsa_code_object_version 6
	.protected	fft_rtc_fwd_len1092_factors_2_2_13_7_3_wgs_52_tpt_52_halfLds_dp_op_CI_CI_unitstride_sbrr_R2C_dirReg ; -- Begin function fft_rtc_fwd_len1092_factors_2_2_13_7_3_wgs_52_tpt_52_halfLds_dp_op_CI_CI_unitstride_sbrr_R2C_dirReg
	.globl	fft_rtc_fwd_len1092_factors_2_2_13_7_3_wgs_52_tpt_52_halfLds_dp_op_CI_CI_unitstride_sbrr_R2C_dirReg
	.p2align	8
	.type	fft_rtc_fwd_len1092_factors_2_2_13_7_3_wgs_52_tpt_52_halfLds_dp_op_CI_CI_unitstride_sbrr_R2C_dirReg,@function
fft_rtc_fwd_len1092_factors_2_2_13_7_3_wgs_52_tpt_52_halfLds_dp_op_CI_CI_unitstride_sbrr_R2C_dirReg: ; @fft_rtc_fwd_len1092_factors_2_2_13_7_3_wgs_52_tpt_52_halfLds_dp_op_CI_CI_unitstride_sbrr_R2C_dirReg
; %bb.0:
	s_clause 0x2
	s_load_b128 s[8:11], s[0:1], 0x0
	s_load_b128 s[4:7], s[0:1], 0x58
	;; [unrolled: 1-line block ×3, first 2 shown]
	v_mul_u32_u24_e32 v1, 0x4ed, v0
	v_mov_b32_e32 v3, 0
	s_delay_alu instid0(VALU_DEP_2) | instskip(NEXT) | instid1(VALU_DEP_1)
	v_lshrrev_b32_e32 v1, 16, v1
	v_add_nc_u32_e32 v5, s15, v1
	v_mov_b32_e32 v1, 0
	v_mov_b32_e32 v2, 0
	;; [unrolled: 1-line block ×3, first 2 shown]
	s_waitcnt lgkmcnt(0)
	v_cmp_lt_u64_e64 s2, s[10:11], 2
	s_delay_alu instid0(VALU_DEP_1)
	s_and_b32 vcc_lo, exec_lo, s2
	s_cbranch_vccnz .LBB0_8
; %bb.1:
	s_load_b64 s[2:3], s[0:1], 0x10
	v_mov_b32_e32 v1, 0
	v_mov_b32_e32 v2, 0
	s_add_u32 s12, s18, 8
	s_addc_u32 s13, s19, 0
	s_add_u32 s14, s16, 8
	s_addc_u32 s15, s17, 0
	v_dual_mov_b32 v121, v2 :: v_dual_mov_b32 v120, v1
	s_mov_b64 s[22:23], 1
	s_waitcnt lgkmcnt(0)
	s_add_u32 s20, s2, 8
	s_addc_u32 s21, s3, 0
.LBB0_2:                                ; =>This Inner Loop Header: Depth=1
	s_load_b64 s[24:25], s[20:21], 0x0
                                        ; implicit-def: $vgpr124_vgpr125
	s_mov_b32 s2, exec_lo
	s_waitcnt lgkmcnt(0)
	v_or_b32_e32 v4, s25, v6
	s_delay_alu instid0(VALU_DEP_1)
	v_cmpx_ne_u64_e32 0, v[3:4]
	s_xor_b32 s3, exec_lo, s2
	s_cbranch_execz .LBB0_4
; %bb.3:                                ;   in Loop: Header=BB0_2 Depth=1
	v_cvt_f32_u32_e32 v4, s24
	v_cvt_f32_u32_e32 v7, s25
	s_sub_u32 s2, 0, s24
	s_subb_u32 s26, 0, s25
	s_delay_alu instid0(VALU_DEP_1) | instskip(NEXT) | instid1(VALU_DEP_1)
	v_fmac_f32_e32 v4, 0x4f800000, v7
	v_rcp_f32_e32 v4, v4
	s_waitcnt_depctr 0xfff
	v_mul_f32_e32 v4, 0x5f7ffffc, v4
	s_delay_alu instid0(VALU_DEP_1) | instskip(NEXT) | instid1(VALU_DEP_1)
	v_mul_f32_e32 v7, 0x2f800000, v4
	v_trunc_f32_e32 v7, v7
	s_delay_alu instid0(VALU_DEP_1) | instskip(SKIP_1) | instid1(VALU_DEP_2)
	v_fmac_f32_e32 v4, 0xcf800000, v7
	v_cvt_u32_f32_e32 v7, v7
	v_cvt_u32_f32_e32 v4, v4
	s_delay_alu instid0(VALU_DEP_2) | instskip(NEXT) | instid1(VALU_DEP_2)
	v_mul_lo_u32 v8, s2, v7
	v_mul_hi_u32 v9, s2, v4
	v_mul_lo_u32 v10, s26, v4
	s_delay_alu instid0(VALU_DEP_2) | instskip(SKIP_1) | instid1(VALU_DEP_2)
	v_add_nc_u32_e32 v8, v9, v8
	v_mul_lo_u32 v9, s2, v4
	v_add_nc_u32_e32 v8, v8, v10
	s_delay_alu instid0(VALU_DEP_2) | instskip(NEXT) | instid1(VALU_DEP_2)
	v_mul_hi_u32 v10, v4, v9
	v_mul_lo_u32 v11, v4, v8
	v_mul_hi_u32 v12, v4, v8
	v_mul_hi_u32 v13, v7, v9
	v_mul_lo_u32 v9, v7, v9
	v_mul_hi_u32 v14, v7, v8
	v_mul_lo_u32 v8, v7, v8
	v_add_co_u32 v10, vcc_lo, v10, v11
	v_add_co_ci_u32_e32 v11, vcc_lo, 0, v12, vcc_lo
	s_delay_alu instid0(VALU_DEP_2) | instskip(NEXT) | instid1(VALU_DEP_2)
	v_add_co_u32 v9, vcc_lo, v10, v9
	v_add_co_ci_u32_e32 v9, vcc_lo, v11, v13, vcc_lo
	v_add_co_ci_u32_e32 v10, vcc_lo, 0, v14, vcc_lo
	s_delay_alu instid0(VALU_DEP_2) | instskip(NEXT) | instid1(VALU_DEP_2)
	v_add_co_u32 v8, vcc_lo, v9, v8
	v_add_co_ci_u32_e32 v9, vcc_lo, 0, v10, vcc_lo
	s_delay_alu instid0(VALU_DEP_2) | instskip(NEXT) | instid1(VALU_DEP_2)
	v_add_co_u32 v4, vcc_lo, v4, v8
	v_add_co_ci_u32_e32 v7, vcc_lo, v7, v9, vcc_lo
	s_delay_alu instid0(VALU_DEP_2) | instskip(SKIP_1) | instid1(VALU_DEP_3)
	v_mul_hi_u32 v8, s2, v4
	v_mul_lo_u32 v10, s26, v4
	v_mul_lo_u32 v9, s2, v7
	s_delay_alu instid0(VALU_DEP_1) | instskip(SKIP_1) | instid1(VALU_DEP_2)
	v_add_nc_u32_e32 v8, v8, v9
	v_mul_lo_u32 v9, s2, v4
	v_add_nc_u32_e32 v8, v8, v10
	s_delay_alu instid0(VALU_DEP_2) | instskip(NEXT) | instid1(VALU_DEP_2)
	v_mul_hi_u32 v10, v4, v9
	v_mul_lo_u32 v11, v4, v8
	v_mul_hi_u32 v12, v4, v8
	v_mul_hi_u32 v13, v7, v9
	v_mul_lo_u32 v9, v7, v9
	v_mul_hi_u32 v14, v7, v8
	v_mul_lo_u32 v8, v7, v8
	v_add_co_u32 v10, vcc_lo, v10, v11
	v_add_co_ci_u32_e32 v11, vcc_lo, 0, v12, vcc_lo
	s_delay_alu instid0(VALU_DEP_2) | instskip(NEXT) | instid1(VALU_DEP_2)
	v_add_co_u32 v9, vcc_lo, v10, v9
	v_add_co_ci_u32_e32 v9, vcc_lo, v11, v13, vcc_lo
	v_add_co_ci_u32_e32 v10, vcc_lo, 0, v14, vcc_lo
	s_delay_alu instid0(VALU_DEP_2) | instskip(NEXT) | instid1(VALU_DEP_2)
	v_add_co_u32 v8, vcc_lo, v9, v8
	v_add_co_ci_u32_e32 v9, vcc_lo, 0, v10, vcc_lo
	s_delay_alu instid0(VALU_DEP_2) | instskip(NEXT) | instid1(VALU_DEP_2)
	v_add_co_u32 v4, vcc_lo, v4, v8
	v_add_co_ci_u32_e32 v13, vcc_lo, v7, v9, vcc_lo
	s_delay_alu instid0(VALU_DEP_2) | instskip(SKIP_1) | instid1(VALU_DEP_3)
	v_mul_hi_u32 v14, v5, v4
	v_mad_u64_u32 v[9:10], null, v6, v4, 0
	v_mad_u64_u32 v[7:8], null, v5, v13, 0
	;; [unrolled: 1-line block ×3, first 2 shown]
	s_delay_alu instid0(VALU_DEP_2) | instskip(NEXT) | instid1(VALU_DEP_3)
	v_add_co_u32 v4, vcc_lo, v14, v7
	v_add_co_ci_u32_e32 v7, vcc_lo, 0, v8, vcc_lo
	s_delay_alu instid0(VALU_DEP_2) | instskip(NEXT) | instid1(VALU_DEP_2)
	v_add_co_u32 v4, vcc_lo, v4, v9
	v_add_co_ci_u32_e32 v4, vcc_lo, v7, v10, vcc_lo
	v_add_co_ci_u32_e32 v7, vcc_lo, 0, v12, vcc_lo
	s_delay_alu instid0(VALU_DEP_2) | instskip(NEXT) | instid1(VALU_DEP_2)
	v_add_co_u32 v4, vcc_lo, v4, v11
	v_add_co_ci_u32_e32 v9, vcc_lo, 0, v7, vcc_lo
	s_delay_alu instid0(VALU_DEP_2) | instskip(SKIP_1) | instid1(VALU_DEP_3)
	v_mul_lo_u32 v10, s25, v4
	v_mad_u64_u32 v[7:8], null, s24, v4, 0
	v_mul_lo_u32 v11, s24, v9
	s_delay_alu instid0(VALU_DEP_2) | instskip(NEXT) | instid1(VALU_DEP_2)
	v_sub_co_u32 v7, vcc_lo, v5, v7
	v_add3_u32 v8, v8, v11, v10
	s_delay_alu instid0(VALU_DEP_1) | instskip(NEXT) | instid1(VALU_DEP_1)
	v_sub_nc_u32_e32 v10, v6, v8
	v_subrev_co_ci_u32_e64 v10, s2, s25, v10, vcc_lo
	v_add_co_u32 v11, s2, v4, 2
	s_delay_alu instid0(VALU_DEP_1) | instskip(SKIP_3) | instid1(VALU_DEP_3)
	v_add_co_ci_u32_e64 v12, s2, 0, v9, s2
	v_sub_co_u32 v13, s2, v7, s24
	v_sub_co_ci_u32_e32 v8, vcc_lo, v6, v8, vcc_lo
	v_subrev_co_ci_u32_e64 v10, s2, 0, v10, s2
	v_cmp_le_u32_e32 vcc_lo, s24, v13
	s_delay_alu instid0(VALU_DEP_3) | instskip(SKIP_1) | instid1(VALU_DEP_4)
	v_cmp_eq_u32_e64 s2, s25, v8
	v_cndmask_b32_e64 v13, 0, -1, vcc_lo
	v_cmp_le_u32_e32 vcc_lo, s25, v10
	v_cndmask_b32_e64 v14, 0, -1, vcc_lo
	v_cmp_le_u32_e32 vcc_lo, s24, v7
	;; [unrolled: 2-line block ×3, first 2 shown]
	v_cndmask_b32_e64 v15, 0, -1, vcc_lo
	v_cmp_eq_u32_e32 vcc_lo, s25, v10
	s_delay_alu instid0(VALU_DEP_2) | instskip(SKIP_3) | instid1(VALU_DEP_3)
	v_cndmask_b32_e64 v7, v15, v7, s2
	v_cndmask_b32_e32 v10, v14, v13, vcc_lo
	v_add_co_u32 v13, vcc_lo, v4, 1
	v_add_co_ci_u32_e32 v14, vcc_lo, 0, v9, vcc_lo
	v_cmp_ne_u32_e32 vcc_lo, 0, v10
	s_delay_alu instid0(VALU_DEP_2) | instskip(NEXT) | instid1(VALU_DEP_4)
	v_cndmask_b32_e32 v8, v14, v12, vcc_lo
	v_cndmask_b32_e32 v10, v13, v11, vcc_lo
	v_cmp_ne_u32_e32 vcc_lo, 0, v7
	s_delay_alu instid0(VALU_DEP_2)
	v_dual_cndmask_b32 v125, v9, v8 :: v_dual_cndmask_b32 v124, v4, v10
.LBB0_4:                                ;   in Loop: Header=BB0_2 Depth=1
	s_and_not1_saveexec_b32 s2, s3
	s_cbranch_execz .LBB0_6
; %bb.5:                                ;   in Loop: Header=BB0_2 Depth=1
	v_cvt_f32_u32_e32 v4, s24
	s_sub_i32 s3, 0, s24
	v_mov_b32_e32 v125, v3
	s_delay_alu instid0(VALU_DEP_2) | instskip(SKIP_2) | instid1(VALU_DEP_1)
	v_rcp_iflag_f32_e32 v4, v4
	s_waitcnt_depctr 0xfff
	v_mul_f32_e32 v4, 0x4f7ffffe, v4
	v_cvt_u32_f32_e32 v4, v4
	s_delay_alu instid0(VALU_DEP_1) | instskip(NEXT) | instid1(VALU_DEP_1)
	v_mul_lo_u32 v7, s3, v4
	v_mul_hi_u32 v7, v4, v7
	s_delay_alu instid0(VALU_DEP_1) | instskip(NEXT) | instid1(VALU_DEP_1)
	v_add_nc_u32_e32 v4, v4, v7
	v_mul_hi_u32 v4, v5, v4
	s_delay_alu instid0(VALU_DEP_1) | instskip(SKIP_1) | instid1(VALU_DEP_2)
	v_mul_lo_u32 v7, v4, s24
	v_add_nc_u32_e32 v8, 1, v4
	v_sub_nc_u32_e32 v7, v5, v7
	s_delay_alu instid0(VALU_DEP_1) | instskip(SKIP_1) | instid1(VALU_DEP_2)
	v_subrev_nc_u32_e32 v9, s24, v7
	v_cmp_le_u32_e32 vcc_lo, s24, v7
	v_dual_cndmask_b32 v7, v7, v9 :: v_dual_cndmask_b32 v4, v4, v8
	s_delay_alu instid0(VALU_DEP_1) | instskip(NEXT) | instid1(VALU_DEP_2)
	v_cmp_le_u32_e32 vcc_lo, s24, v7
	v_add_nc_u32_e32 v8, 1, v4
	s_delay_alu instid0(VALU_DEP_1)
	v_cndmask_b32_e32 v124, v4, v8, vcc_lo
.LBB0_6:                                ;   in Loop: Header=BB0_2 Depth=1
	s_or_b32 exec_lo, exec_lo, s2
	s_delay_alu instid0(VALU_DEP_1) | instskip(NEXT) | instid1(VALU_DEP_2)
	v_mul_lo_u32 v4, v125, s24
	v_mul_lo_u32 v9, v124, s25
	s_load_b64 s[2:3], s[14:15], 0x0
	v_mad_u64_u32 v[7:8], null, v124, s24, 0
	s_load_b64 s[24:25], s[12:13], 0x0
	s_add_u32 s22, s22, 1
	s_addc_u32 s23, s23, 0
	s_add_u32 s12, s12, 8
	s_addc_u32 s13, s13, 0
	s_add_u32 s14, s14, 8
	s_delay_alu instid0(VALU_DEP_1) | instskip(SKIP_3) | instid1(VALU_DEP_2)
	v_add3_u32 v4, v8, v9, v4
	v_sub_co_u32 v8, vcc_lo, v5, v7
	s_addc_u32 s15, s15, 0
	s_add_u32 s20, s20, 8
	v_sub_co_ci_u32_e32 v6, vcc_lo, v6, v4, vcc_lo
	s_addc_u32 s21, s21, 0
	s_waitcnt lgkmcnt(0)
	s_delay_alu instid0(VALU_DEP_1)
	v_mul_lo_u32 v9, s2, v6
	v_mul_lo_u32 v10, s3, v8
	v_mad_u64_u32 v[4:5], null, s2, v8, v[1:2]
	v_mul_lo_u32 v11, s24, v6
	v_mul_lo_u32 v12, s25, v8
	v_mad_u64_u32 v[6:7], null, s24, v8, v[120:121]
	v_cmp_ge_u64_e64 s2, s[22:23], s[10:11]
	v_add3_u32 v2, v10, v5, v9
	s_delay_alu instid0(VALU_DEP_3) | instskip(NEXT) | instid1(VALU_DEP_4)
	v_dual_mov_b32 v1, v4 :: v_dual_mov_b32 v120, v6
	v_add3_u32 v121, v12, v7, v11
	s_delay_alu instid0(VALU_DEP_4)
	s_and_b32 vcc_lo, exec_lo, s2
	s_cbranch_vccnz .LBB0_9
; %bb.7:                                ;   in Loop: Header=BB0_2 Depth=1
	v_dual_mov_b32 v5, v124 :: v_dual_mov_b32 v6, v125
	s_branch .LBB0_2
.LBB0_8:
	v_dual_mov_b32 v121, v2 :: v_dual_mov_b32 v120, v1
	v_dual_mov_b32 v125, v6 :: v_dual_mov_b32 v124, v5
.LBB0_9:
	s_load_b64 s[0:1], s[0:1], 0x28
	v_mul_hi_u32 v3, 0x4ec4ec5, v0
	s_lshl_b64 s[10:11], s[10:11], 3
                                        ; implicit-def: $vgpr4
                                        ; implicit-def: $vgpr122
                                        ; implicit-def: $vgpr126
                                        ; implicit-def: $vgpr136
                                        ; implicit-def: $vgpr135
	s_clause 0x5
	scratch_store_b64 off, v[4:5], off offset:32
	; meta instruction
	scratch_store_b64 off, v[4:5], off offset:24
	; meta instruction
	;; [unrolled: 2-line block ×4, first 2 shown]
	; meta instruction
	scratch_store_b64 off, v[4:5], off
	; meta instruction
	scratch_store_b64 off, v[4:5], off offset:40
	s_add_u32 s2, s18, s10
	s_addc_u32 s3, s19, s11
	s_waitcnt lgkmcnt(0)
	v_cmp_gt_u64_e32 vcc_lo, s[0:1], v[124:125]
	v_cmp_le_u64_e64 s0, s[0:1], v[124:125]
	s_delay_alu instid0(VALU_DEP_1) | instskip(NEXT) | instid1(SALU_CYCLE_1)
	s_and_saveexec_b32 s1, s0
	s_xor_b32 s0, exec_lo, s1
	s_cbranch_execz .LBB0_11
; %bb.10:
	v_mul_u32_u24_e32 v1, 52, v3
                                        ; implicit-def: $vgpr3
	s_delay_alu instid0(VALU_DEP_1) | instskip(NEXT) | instid1(VALU_DEP_1)
	v_sub_nc_u32_e32 v122, v0, v1
	v_add_nc_u32_e32 v0, 0xd0, v122
	v_add_nc_u32_e32 v126, 52, v122
	v_add_nc_u32_e32 v136, 0x68, v122
	v_add_nc_u32_e32 v135, 0x9c, v122
	v_add_nc_u32_e32 v189, 0x1a0, v122
	scratch_store_b64 off, v[0:1], off offset:32 ; 8-byte Folded Spill
	v_add_nc_u32_e32 v0, 0x104, v122
	scratch_store_b64 off, v[0:1], off offset:24 ; 8-byte Folded Spill
	v_add_nc_u32_e32 v0, 0x138, v122
	;; [unrolled: 2-line block ×4, first 2 shown]
	scratch_store_b64 off, v[0:1], off      ; 8-byte Folded Spill
	v_add_nc_u32_e32 v0, 0x208, v122
	scratch_store_b64 off, v[0:1], off offset:40 ; 8-byte Folded Spill
                                        ; implicit-def: $vgpr0
                                        ; implicit-def: $vgpr1_vgpr2
.LBB0_11:
	s_and_not1_saveexec_b32 s1, s0
	s_cbranch_execz .LBB0_13
; %bb.12:
	s_add_u32 s10, s16, s10
	s_addc_u32 s11, s17, s11
	v_lshlrev_b64 v[1:2], 4, v[1:2]
	s_load_b64 s[10:11], s[10:11], 0x0
	s_waitcnt lgkmcnt(0)
	v_mul_lo_u32 v6, s11, v124
	v_mul_lo_u32 v7, s10, v125
	v_mad_u64_u32 v[4:5], null, s10, v124, 0
	s_delay_alu instid0(VALU_DEP_1) | instskip(SKIP_1) | instid1(VALU_DEP_2)
	v_add3_u32 v5, v5, v7, v6
	v_mul_u32_u24_e32 v6, 52, v3
	v_lshlrev_b64 v[3:4], 4, v[4:5]
	s_delay_alu instid0(VALU_DEP_2) | instskip(NEXT) | instid1(VALU_DEP_1)
	v_sub_nc_u32_e32 v122, v0, v6
	v_lshlrev_b32_e32 v84, 4, v122
	s_delay_alu instid0(VALU_DEP_3) | instskip(NEXT) | instid1(VALU_DEP_1)
	v_add_co_u32 v0, s0, s4, v3
	v_add_co_ci_u32_e64 v3, s0, s5, v4, s0
	v_add_nc_u32_e32 v85, 0xd0, v122
	s_delay_alu instid0(VALU_DEP_3) | instskip(NEXT) | instid1(VALU_DEP_1)
	v_add_co_u32 v0, s0, v0, v1
	v_add_co_ci_u32_e64 v1, s0, v3, v2, s0
	v_or_b32_e32 v2, 0x3400, v84
	s_delay_alu instid0(VALU_DEP_3) | instskip(NEXT) | instid1(VALU_DEP_1)
	v_add_co_u32 v16, s0, v0, v84
	v_add_co_ci_u32_e64 v17, s0, 0, v1, s0
	s_delay_alu instid0(VALU_DEP_3) | instskip(NEXT) | instid1(VALU_DEP_1)
	v_add_co_u32 v64, s0, v0, v2
	v_add_co_ci_u32_e64 v65, s0, 0, v1, s0
	s_delay_alu instid0(VALU_DEP_4) | instskip(NEXT) | instid1(VALU_DEP_1)
	v_add_co_u32 v36, s0, 0x1000, v16
	v_add_co_ci_u32_e64 v37, s0, 0, v17, s0
	v_add_co_u32 v56, s0, 0x2000, v16
	s_delay_alu instid0(VALU_DEP_1) | instskip(SKIP_1) | instid1(VALU_DEP_1)
	v_add_co_ci_u32_e64 v57, s0, 0, v17, s0
	v_add_co_u32 v76, s0, 0x3000, v16
	v_add_co_ci_u32_e64 v77, s0, 0, v17, s0
	v_add_co_u32 v80, s0, 0x4000, v16
	s_delay_alu instid0(VALU_DEP_1)
	v_add_co_ci_u32_e64 v81, s0, 0, v17, s0
	s_clause 0x14
	global_load_b128 v[0:3], v[16:17], off
	global_load_b128 v[4:7], v[16:17], off offset:832
	global_load_b128 v[8:11], v[16:17], off offset:1664
	;; [unrolled: 1-line block ×15, first 2 shown]
	global_load_b128 v[64:67], v[64:65], off
	global_load_b128 v[68:71], v[76:77], off offset:1856
	global_load_b128 v[72:75], v[76:77], off offset:2688
	;; [unrolled: 1-line block ×4, first 2 shown]
	scratch_store_b64 off, v[85:86], off offset:32 ; 8-byte Folded Spill
	v_add_nc_u32_e32 v85, 0x104, v122
	v_add_nc_u32_e32 v126, 52, v122
	;; [unrolled: 1-line block ×5, first 2 shown]
	scratch_store_b64 off, v[85:86], off offset:24 ; 8-byte Folded Spill
	v_add_nc_u32_e32 v85, 0x138, v122
	v_add_nc_u32_e32 v189, 0x1a0, v122
	scratch_store_b64 off, v[85:86], off offset:16 ; 8-byte Folded Spill
	v_add_nc_u32_e32 v85, 0x16c, v122
	scratch_store_b64 off, v[85:86], off offset:8 ; 8-byte Folded Spill
	v_add_nc_u32_e32 v85, 0x1d4, v122
	scratch_store_b64 off, v[85:86], off    ; 8-byte Folded Spill
	v_add_nc_u32_e32 v85, 0x208, v122
	scratch_store_b64 off, v[85:86], off offset:40 ; 8-byte Folded Spill
	s_waitcnt vmcnt(20)
	ds_store_b128 v84, v[0:3]
	s_waitcnt vmcnt(19)
	ds_store_b128 v84, v[4:7] offset:832
	s_waitcnt vmcnt(18)
	ds_store_b128 v84, v[8:11] offset:1664
	;; [unrolled: 2-line block ×20, first 2 shown]
.LBB0_13:
	s_or_b32 exec_lo, exec_lo, s1
	v_lshlrev_b32_e32 v96, 4, v122
	s_load_b64 s[2:3], s[2:3], 0x0
	s_waitcnt lgkmcnt(0)
	s_waitcnt_vscnt null, 0x0
	s_barrier
	buffer_gl0_inv
	v_add_nc_u32_e32 v188, 0, v96
	v_cmp_gt_u32_e64 s0, 26, v122
	ds_load_b128 v[4:7], v188
	ds_load_b128 v[8:11], v188 offset:832
	ds_load_b128 v[0:3], v188 offset:8736
	;; [unrolled: 1-line block ×21, first 2 shown]
	s_waitcnt lgkmcnt(19)
	v_add_f64 v[88:89], v[4:5], -v[0:1]
	v_add_f64 v[90:91], v[6:7], -v[2:3]
	s_waitcnt lgkmcnt(17)
	v_add_f64 v[16:17], v[8:9], -v[16:17]
	v_add_f64 v[18:19], v[10:11], -v[18:19]
	;; [unrolled: 3-line block ×9, first 2 shown]
	s_waitcnt lgkmcnt(1)
	v_add_f64 v[80:81], v[76:77], -v[80:81]
	s_waitcnt lgkmcnt(0)
	v_add_f64 v[0:1], v[12:13], -v[84:85]
	scratch_load_b64 v[84:85], off, off offset:32 ; 8-byte Folded Reload
	v_add_f64 v[2:3], v[14:15], -v[86:87]
	v_add_f64 v[82:83], v[78:79], -v[82:83]
	v_lshl_add_u32 v86, v189, 5, 0
	v_fma_f64 v[4:5], v[4:5], 2.0, -v[88:89]
	v_fma_f64 v[6:7], v[6:7], 2.0, -v[90:91]
	v_fma_f64 v[8:9], v[8:9], 2.0, -v[16:17]
	v_fma_f64 v[10:11], v[10:11], 2.0, -v[18:19]
	v_fma_f64 v[24:25], v[24:25], 2.0, -v[20:21]
	v_fma_f64 v[26:27], v[26:27], 2.0, -v[22:23]
	v_fma_f64 v[30:31], v[30:31], 2.0, -v[94:95]
	v_fma_f64 v[28:29], v[28:29], 2.0, -v[92:93]
	v_fma_f64 v[40:41], v[40:41], 2.0, -v[36:37]
	v_fma_f64 v[42:43], v[42:43], 2.0, -v[38:39]
	v_fma_f64 v[44:45], v[44:45], 2.0, -v[48:49]
	v_fma_f64 v[46:47], v[46:47], 2.0, -v[50:51]
	v_fma_f64 v[56:57], v[56:57], 2.0, -v[52:53]
	v_fma_f64 v[58:59], v[58:59], 2.0, -v[54:55]
	v_fma_f64 v[60:61], v[60:61], 2.0, -v[64:65]
	v_fma_f64 v[62:63], v[62:63], 2.0, -v[66:67]
	v_fma_f64 v[72:73], v[72:73], 2.0, -v[68:69]
	v_fma_f64 v[74:75], v[74:75], 2.0, -v[70:71]
	v_fma_f64 v[76:77], v[76:77], 2.0, -v[80:81]
	v_fma_f64 v[32:33], v[12:13], 2.0, -v[0:1]
	v_lshl_add_u32 v12, v126, 5, 0
	v_fma_f64 v[34:35], v[14:15], 2.0, -v[2:3]
	v_fma_f64 v[78:79], v[78:79], 2.0, -v[82:83]
	v_lshl_add_u32 v13, v136, 5, 0
	v_lshl_add_u32 v14, v135, 5, 0
	s_waitcnt vmcnt(0)
	v_lshl_add_u32 v15, v84, 5, 0
	scratch_load_b64 v[84:85], off, off offset:24 ; 8-byte Folded Reload
	s_waitcnt vmcnt(0)
	v_lshl_add_u32 v87, v84, 5, 0
	scratch_load_b64 v[84:85], off, off offset:16 ; 8-byte Folded Reload
	;; [unrolled: 3-line block ×3, first 2 shown]
	s_waitcnt vmcnt(0)
	v_lshl_add_u32 v97, v84, 5, 0
	scratch_load_b64 v[84:85], off, off     ; 8-byte Folded Reload
	s_waitcnt vmcnt(0)
	s_barrier
	buffer_gl0_inv
	v_lshl_add_u32 v85, v84, 5, 0
	v_add_nc_u32_e32 v84, v188, v96
	ds_store_b128 v84, v[4:7]
	ds_store_b128 v84, v[88:91] offset:16
	ds_store_b128 v12, v[8:11]
	ds_store_b128 v12, v[16:19] offset:16
	ds_store_b128 v13, v[24:27]
	ds_store_b128 v13, v[20:23] offset:16
	ds_store_b128 v14, v[28:31]
	ds_store_b128 v14, v[92:95] offset:16
	ds_store_b128 v15, v[40:43]
	ds_store_b128 v15, v[36:39] offset:16
	ds_store_b128 v87, v[44:47]
	ds_store_b128 v87, v[48:51] offset:16
	ds_store_b128 v98, v[56:59]
	scratch_store_b32 off, v98, off offset:80 ; 4-byte Folded Spill
	ds_store_b128 v98, v[52:55] offset:16
	ds_store_b128 v97, v[60:63]
	scratch_store_b32 off, v97, off offset:52 ; 4-byte Folded Spill
	ds_store_b128 v97, v[64:67] offset:16
	;; [unrolled: 3-line block ×4, first 2 shown]
	s_and_saveexec_b32 s1, s0
	s_cbranch_execz .LBB0_15
; %bb.14:
	scratch_load_b64 v[4:5], off, off offset:40 ; 8-byte Folded Reload
	s_waitcnt vmcnt(0)
	v_lshl_add_u32 v4, v4, 5, 0
	ds_store_b128 v4, v[32:35]
	ds_store_b128 v4, v[0:3] offset:16
.LBB0_15:
	s_or_b32 exec_lo, exec_lo, s1
	s_waitcnt lgkmcnt(0)
	s_waitcnt_vscnt null, 0x0
	s_barrier
	buffer_gl0_inv
	ds_load_b128 v[20:23], v188
	ds_load_b128 v[4:7], v188 offset:8736
	ds_load_b128 v[12:15], v188 offset:9568
	;; [unrolled: 1-line block ×3, first 2 shown]
	scratch_load_b64 v[16:17], off, off offset:24 ; 8-byte Folded Reload
	v_lshl_add_u32 v19, v136, 4, 0
	v_lshl_add_u32 v18, v135, 4, 0
	;; [unrolled: 1-line block ×3, first 2 shown]
	s_clause 0x1
	scratch_store_b32 off, v19, off offset:100
	scratch_store_b32 off, v18, off offset:96
	ds_load_b128 v[28:31], v19
	ds_load_b128 v[24:27], v18
	s_waitcnt vmcnt(0)
	v_mov_b32_e32 v91, v16
	scratch_load_b64 v[16:17], off, off offset:32 ; 8-byte Folded Reload
	v_lshlrev_b32_e32 v36, 4, v91
	s_waitcnt vmcnt(0)
	v_mov_b32_e32 v92, v16
	ds_load_b128 v[64:67], v188 offset:11232
	ds_load_b128 v[16:19], v188 offset:12064
	s_clause 0x1
	scratch_store_b32 off, v87, off offset:108
	scratch_store_b32 off, v36, off offset:112
	scratch_load_b64 v[37:38], off, off offset:16 ; 8-byte Folded Reload
	s_waitcnt vmcnt(0)
	v_mov_b32_e32 v90, v37
	scratch_load_b64 v[37:38], off, off offset:8 ; 8-byte Folded Reload
	v_lshlrev_b32_e32 v91, 1, v91
	v_lshlrev_b32_e32 v45, 4, v90
	v_lshl_add_u32 v39, v92, 4, 0
	v_lshlrev_b32_e32 v92, 1, v92
	v_lshlrev_b32_e32 v90, 1, v90
	scratch_store_b32 off, v39, off offset:48 ; 4-byte Folded Spill
	s_waitcnt vmcnt(0)
	v_mov_b32_e32 v89, v37
	scratch_load_b64 v[37:38], off, off     ; 8-byte Folded Reload
	v_sub_nc_u32_e32 v36, v87, v36
	v_lshlrev_b32_e32 v47, 4, v189
	v_lshlrev_b32_e32 v46, 4, v89
	s_waitcnt vmcnt(0)
	v_mov_b32_e32 v88, v37
	ds_load_b128 v[40:43], v39
	ds_load_b128 v[36:39], v36
	scratch_load_b32 v44, off, off offset:80 ; 4-byte Folded Reload
	scratch_store_b32 off, v45, off offset:116 ; 4-byte Folded Spill
	v_lshlrev_b32_e32 v48, 4, v88
	scratch_store_b32 off, v46, off offset:120 ; 4-byte Folded Spill
	v_lshlrev_b32_e32 v88, 1, v88
	scratch_store_b32 off, v48, off offset:124 ; 4-byte Folded Spill
	s_waitcnt vmcnt(0)
	v_sub_nc_u32_e32 v44, v44, v45
	scratch_load_b32 v45, off, off offset:52 ; 4-byte Folded Reload
	s_waitcnt vmcnt(0)
	v_sub_nc_u32_e32 v45, v45, v46
	v_lshl_add_u32 v46, v189, 5, 0
	s_delay_alu instid0(VALU_DEP_1)
	v_sub_nc_u32_e32 v46, v46, v47
	scratch_load_b32 v47, off, off offset:84 ; 4-byte Folded Reload
	s_waitcnt vmcnt(0)
	v_sub_nc_u32_e32 v47, v47, v48
	ds_load_b128 v[72:75], v188 offset:12896
	ds_load_b128 v[68:71], v188 offset:13728
	ds_load_b128 v[56:59], v44
	ds_load_b128 v[52:55], v45
	;; [unrolled: 1-line block ×4, first 2 shown]
	ds_load_b128 v[84:87], v188 offset:14560
	ds_load_b128 v[76:79], v188 offset:15392
	scratch_store_b32 off, v60, off offset:104 ; 4-byte Folded Spill
	ds_load_b128 v[60:63], v60
	ds_load_b128 v[80:83], v188 offset:16224
	s_clause 0x2
	scratch_store_b64 off, v[92:93], off offset:72
	scratch_store_b64 off, v[91:92], off offset:64
	;; [unrolled: 1-line block ×3, first 2 shown]
	scratch_load_b64 v[91:92], off, off offset:40 ; 8-byte Folded Reload
	v_lshlrev_b32_e32 v90, 1, v89
	v_lshlrev_b32_e32 v89, 1, v189
	s_waitcnt vmcnt(0)
	v_lshl_add_u32 v91, v91, 4, 0
	scratch_store_b32 off, v91, off offset:88 ; 4-byte Folded Spill
	s_and_saveexec_b32 s1, s0
	s_cbranch_execz .LBB0_17
; %bb.16:
	scratch_load_b32 v0, off, off offset:88 ; 4-byte Folded Reload
	s_waitcnt vmcnt(0)
	ds_load_b128 v[32:35], v0
	ds_load_b128 v[0:3], v188 offset:17056
.LBB0_17:
	s_or_b32 exec_lo, exec_lo, s1
	v_and_b32_e32 v91, 1, v122
	v_lshlrev_b32_e32 v137, 1, v122
	s_delay_alu instid0(VALU_DEP_2)
	v_lshlrev_b32_e32 v92, 4, v91
	global_load_b128 v[92:95], v92, s[8:9]
	s_waitcnt vmcnt(0) lgkmcnt(18)
	v_mul_f64 v[96:97], v[6:7], v[94:95]
	v_mul_f64 v[98:99], v[4:5], v[94:95]
	s_waitcnt lgkmcnt(17)
	v_mul_f64 v[100:101], v[14:15], v[94:95]
	v_mul_f64 v[102:103], v[12:13], v[94:95]
	s_waitcnt lgkmcnt(16)
	;; [unrolled: 3-line block ×9, first 2 shown]
	v_mul_f64 v[158:159], v[82:83], v[94:95]
	v_mul_f64 v[160:161], v[80:81], v[94:95]
	;; [unrolled: 1-line block ×4, first 2 shown]
	v_fma_f64 v[4:5], v[4:5], v[92:93], -v[96:97]
	v_fma_f64 v[6:7], v[6:7], v[92:93], v[98:99]
	v_fma_f64 v[12:13], v[12:13], v[92:93], -v[100:101]
	v_fma_f64 v[14:15], v[14:15], v[92:93], v[102:103]
	;; [unrolled: 2-line block ×11, first 2 shown]
	v_add_f64 v[64:65], v[20:21], -v[4:5]
	v_add_f64 v[66:67], v[22:23], -v[6:7]
	;; [unrolled: 1-line block ×22, first 2 shown]
	v_lshlrev_b32_e32 v92, 1, v126
	v_and_or_b32 v104, 0x7c, v137, v91
	s_delay_alu instid0(VALU_DEP_2) | instskip(SKIP_1) | instid1(VALU_DEP_1)
	v_and_or_b32 v105, 0xfc, v92, v91
	v_lshlrev_b32_e32 v92, 1, v136
	v_and_or_b32 v106, 0x1fc, v92, v91
	v_lshlrev_b32_e32 v92, 1, v135
	s_delay_alu instid0(VALU_DEP_1)
	v_and_or_b32 v107, 0x1fc, v92, v91
	scratch_load_b64 v[92:93], off, off offset:72 ; 8-byte Folded Reload
	v_fma_f64 v[94:95], v[22:23], 2.0, -v[66:67]
	v_fma_f64 v[96:97], v[28:29], 2.0, -v[72:73]
	;; [unrolled: 1-line block ×20, first 2 shown]
	v_and_or_b32 v46, 0x3fc, v89, v91
	v_and_or_b32 v47, 0x7fc, v88, v91
	v_lshl_add_u32 v50, v106, 4, 0
	v_lshl_add_u32 v51, v107, 4, 0
	scratch_load_b64 v[44:45], off, off offset:56 ; 8-byte Folded Reload
	v_lshl_add_u32 v46, v46, 4, 0
	v_lshl_add_u32 v47, v47, 4, 0
	s_waitcnt vmcnt(0)
	v_and_or_b32 v45, 0x3fc, v90, v91
	s_delay_alu instid0(VALU_DEP_1)
	v_lshl_add_u32 v45, v45, 4, 0
	v_and_or_b32 v108, 0x3fc, v92, v91
	scratch_load_b64 v[92:93], off, off offset:64 ; 8-byte Folded Reload
	s_waitcnt vmcnt(0)
	s_waitcnt_vscnt null, 0x0
	s_barrier
	buffer_gl0_inv
	v_lshl_add_u32 v52, v108, 4, 0
	v_and_or_b32 v44, 0x2fc, v44, v91
	s_delay_alu instid0(VALU_DEP_1)
	v_lshl_add_u32 v44, v44, 4, 0
	v_and_or_b32 v109, 0x2fc, v92, v91
	v_fma_f64 v[92:93], v[20:21], 2.0, -v[64:65]
	v_fma_f64 v[20:21], v[48:49], 2.0, -v[8:9]
	v_lshl_add_u32 v48, v104, 4, 0
	v_lshl_add_u32 v49, v105, 4, 0
	;; [unrolled: 1-line block ×3, first 2 shown]
	ds_store_b128 v48, v[92:95]
	ds_store_b128 v48, v[64:67] offset:32
	ds_store_b128 v49, v[60:63]
	ds_store_b128 v49, v[68:71] offset:32
	;; [unrolled: 2-line block ×10, first 2 shown]
	s_and_saveexec_b32 s1, s0
	s_cbranch_execz .LBB0_19
; %bb.18:
	scratch_load_b64 v[36:37], off, off offset:40 ; 8-byte Folded Reload
	s_waitcnt vmcnt(0)
	v_lshlrev_b32_e32 v36, 1, v36
	s_delay_alu instid0(VALU_DEP_1) | instskip(NEXT) | instid1(VALU_DEP_1)
	v_and_or_b32 v36, 0x47c, v36, v91
	v_lshl_add_u32 v36, v36, 4, 0
	ds_store_b128 v36, v[32:35]
	ds_store_b128 v36, v[16:19] offset:32
.LBB0_19:
	s_or_b32 exec_lo, exec_lo, s1
	s_waitcnt lgkmcnt(0)
	s_barrier
	buffer_gl0_inv
	ds_load_b128 v[100:103], v188
	ds_load_b128 v[60:63], v188 offset:1344
	ds_load_b128 v[56:59], v188 offset:2688
	;; [unrolled: 1-line block ×12, first 2 shown]
	v_cmp_gt_u32_e64 s1, 32, v122
                                        ; implicit-def: $vgpr50_vgpr51
                                        ; implicit-def: $vgpr46_vgpr47
                                        ; implicit-def: $vgpr42_vgpr43
                                        ; implicit-def: $vgpr38_vgpr39
	s_delay_alu instid0(VALU_DEP_1)
	s_and_saveexec_b32 s4, s1
	s_cbranch_execz .LBB0_21
; %bb.20:
	v_lshl_add_u32 v0, v126, 4, 0
	ds_load_b128 v[0:3], v0
	ds_load_b128 v[24:27], v188 offset:2176
	ds_load_b128 v[4:7], v188 offset:3520
	;; [unrolled: 1-line block ×12, first 2 shown]
.LBB0_21:
	s_or_b32 exec_lo, exec_lo, s4
	v_and_b32_e32 v123, 3, v122
	s_mov_b32 s10, 0x4267c47c
	s_mov_b32 s16, 0x42a4c3d2
	;; [unrolled: 1-line block ×4, first 2 shown]
	v_mul_u32_u24_e32 v52, 12, v123
	s_mov_b32 s28, 0x24c2f84
	s_mov_b32 s30, 0x4bc48dbf
	;; [unrolled: 1-line block ×4, first 2 shown]
	v_lshlrev_b32_e32 v131, 4, v52
	s_mov_b32 s21, 0xbfefc445
	s_mov_b32 s23, 0xbfedeba7
	;; [unrolled: 1-line block ×4, first 2 shown]
	s_clause 0x1
	global_load_b128 v[64:67], v131, s[8:9] offset:32
	global_load_b128 v[52:55], v131, s[8:9] offset:48
	s_mov_b32 s12, 0xe00740e9
	s_mov_b32 s4, 0x1ea71119
	;; [unrolled: 1-line block ×24, first 2 shown]
	s_waitcnt vmcnt(1) lgkmcnt(11)
	v_mul_f64 v[112:113], v[62:63], v[66:67]
	s_delay_alu instid0(VALU_DEP_1) | instskip(SKIP_1) | instid1(VALU_DEP_1)
	v_fma_f64 v[127:128], v[60:61], v[64:65], -v[112:113]
	v_mul_f64 v[60:61], v[60:61], v[66:67]
	v_fma_f64 v[129:130], v[62:63], v[64:65], v[60:61]
	s_waitcnt vmcnt(0) lgkmcnt(10)
	v_mul_f64 v[60:61], v[58:59], v[54:55]
	s_delay_alu instid0(VALU_DEP_1) | instskip(SKIP_1) | instid1(VALU_DEP_1)
	v_fma_f64 v[112:113], v[56:57], v[52:53], -v[60:61]
	v_mul_f64 v[56:57], v[56:57], v[54:55]
	v_fma_f64 v[114:115], v[58:59], v[52:53], v[56:57]
	s_clause 0x1
	global_load_b128 v[56:59], v131, s[8:9] offset:64
	global_load_b128 v[60:63], v131, s[8:9] offset:80
	s_waitcnt vmcnt(1) lgkmcnt(9)
	v_mul_f64 v[116:117], v[74:75], v[58:59]
	s_delay_alu instid0(VALU_DEP_1) | instskip(SKIP_1) | instid1(VALU_DEP_1)
	v_fma_f64 v[116:117], v[72:73], v[56:57], -v[116:117]
	v_mul_f64 v[72:73], v[72:73], v[58:59]
	v_fma_f64 v[118:119], v[74:75], v[56:57], v[72:73]
	s_waitcnt vmcnt(0) lgkmcnt(8)
	v_mul_f64 v[72:73], v[70:71], v[62:63]
	s_delay_alu instid0(VALU_DEP_1) | instskip(SKIP_1) | instid1(VALU_DEP_1)
	v_fma_f64 v[150:151], v[68:69], v[60:61], -v[72:73]
	v_mul_f64 v[68:69], v[68:69], v[62:63]
	v_fma_f64 v[152:153], v[70:71], v[60:61], v[68:69]
	s_clause 0x1
	global_load_b128 v[68:71], v131, s[8:9] offset:96
	global_load_b128 v[72:75], v131, s[8:9] offset:112
	;; [unrolled: 15-line block ×3, first 2 shown]
	s_waitcnt vmcnt(1) lgkmcnt(5)
	v_mul_f64 v[162:163], v[98:99], v[82:83]
	s_delay_alu instid0(VALU_DEP_1) | instskip(SKIP_1) | instid1(VALU_DEP_2)
	v_fma_f64 v[162:163], v[96:97], v[80:81], -v[162:163]
	v_mul_f64 v[96:97], v[96:97], v[82:83]
	v_add_f64 v[146:147], v[158:159], v[162:163]
	s_delay_alu instid0(VALU_DEP_2) | instskip(SKIP_2) | instid1(VALU_DEP_1)
	v_fma_f64 v[164:165], v[98:99], v[80:81], v[96:97]
	s_waitcnt vmcnt(0) lgkmcnt(4)
	v_mul_f64 v[96:97], v[86:87], v[78:79]
	v_fma_f64 v[166:167], v[84:85], v[76:77], -v[96:97]
	v_mul_f64 v[84:85], v[84:85], v[78:79]
	s_delay_alu instid0(VALU_DEP_2) | instskip(NEXT) | instid1(VALU_DEP_2)
	v_add_f64 v[254:255], v[154:155], v[166:167]
	v_fma_f64 v[168:169], v[86:87], v[76:77], v[84:85]
	s_clause 0x1
	global_load_b128 v[96:99], v131, s[8:9] offset:160
	global_load_b128 v[84:87], v131, s[8:9] offset:176
	s_waitcnt vmcnt(1) lgkmcnt(3)
	v_mul_f64 v[170:171], v[94:95], v[98:99]
	s_delay_alu instid0(VALU_DEP_1) | instskip(SKIP_1) | instid1(VALU_DEP_2)
	v_fma_f64 v[170:171], v[92:93], v[96:97], -v[170:171]
	v_mul_f64 v[92:93], v[92:93], v[98:99]
	v_add_f64 v[246:247], v[150:151], v[170:171]
	s_delay_alu instid0(VALU_DEP_2) | instskip(SKIP_3) | instid1(VALU_DEP_3)
	v_fma_f64 v[172:173], v[94:95], v[96:97], v[92:93]
	s_waitcnt vmcnt(0) lgkmcnt(2)
	v_mul_f64 v[92:93], v[90:91], v[86:87]
	v_add_f64 v[252:253], v[150:151], -v[170:171]
	v_add_f64 v[250:251], v[152:153], -v[172:173]
	s_delay_alu instid0(VALU_DEP_3) | instskip(SKIP_4) | instid1(VALU_DEP_4)
	v_fma_f64 v[174:175], v[88:89], v[84:85], -v[92:93]
	v_mul_f64 v[88:89], v[88:89], v[86:87]
	v_add_f64 v[248:249], v[152:153], v[172:173]
	v_mul_f64 v[140:141], v[252:253], s[22:23]
	v_mul_f64 v[138:139], v[250:251], s[22:23]
	v_fma_f64 v[176:177], v[90:91], v[84:85], v[88:89]
	s_clause 0x1
	global_load_b128 v[88:91], v131, s[8:9] offset:192
	global_load_b128 v[92:95], v131, s[8:9] offset:208
	s_waitcnt vmcnt(1) lgkmcnt(1)
	v_mul_f64 v[178:179], v[110:111], v[90:91]
	s_delay_alu instid0(VALU_DEP_1) | instskip(SKIP_1) | instid1(VALU_DEP_1)
	v_fma_f64 v[178:179], v[108:109], v[88:89], -v[178:179]
	v_mul_f64 v[108:109], v[108:109], v[90:91]
	v_fma_f64 v[108:109], v[110:111], v[88:89], v[108:109]
	s_waitcnt vmcnt(0) lgkmcnt(0)
	v_mul_f64 v[110:111], v[104:105], v[94:95]
	s_delay_alu instid0(VALU_DEP_1) | instskip(SKIP_1) | instid1(VALU_DEP_2)
	v_fma_f64 v[110:111], v[106:107], v[92:93], v[110:111]
	v_mul_f64 v[106:107], v[106:107], v[94:95]
	v_add_f64 v[216:217], v[129:130], v[110:111]
	s_delay_alu instid0(VALU_DEP_2) | instskip(SKIP_1) | instid1(VALU_DEP_2)
	v_fma_f64 v[180:181], v[104:105], v[92:93], -v[106:107]
	v_add_f64 v[104:105], v[129:130], -v[110:111]
	v_add_f64 v[192:193], v[127:128], v[180:181]
	s_delay_alu instid0(VALU_DEP_2)
	v_mul_f64 v[106:107], v[104:105], s[10:11]
	v_mul_f64 v[182:183], v[104:105], s[16:17]
	v_mul_f64 v[184:185], v[104:105], s[20:21]
	v_mul_f64 v[186:187], v[104:105], s[22:23]
	v_mul_f64 v[190:191], v[104:105], s[28:29]
	v_mul_f64 v[104:105], v[104:105], s[30:31]
	v_fma_f64 v[194:195], v[192:193], s[12:13], -v[106:107]
	v_fma_f64 v[106:107], v[192:193], s[12:13], v[106:107]
	v_fma_f64 v[196:197], v[192:193], s[4:5], -v[182:183]
	v_fma_f64 v[182:183], v[192:193], s[4:5], v[182:183]
	;; [unrolled: 2-line block ×6, first 2 shown]
	v_add_f64 v[104:105], v[127:128], -v[180:181]
	v_add_f64 v[106:107], v[100:101], v[106:107]
	v_add_f64 v[240:241], v[100:101], v[196:197]
	;; [unrolled: 1-line block ×4, first 2 shown]
	v_mul_f64 v[214:215], v[104:105], s[28:29]
	v_mul_f64 v[206:207], v[104:105], s[10:11]
	;; [unrolled: 1-line block ×6, first 2 shown]
	v_fma_f64 v[236:237], v[216:217], s[24:25], -v[214:215]
	v_fma_f64 v[218:219], v[216:217], s[12:13], v[206:207]
	v_fma_f64 v[220:221], v[216:217], s[4:5], v[208:209]
	v_fma_f64 v[208:209], v[216:217], s[4:5], -v[208:209]
	v_fma_f64 v[206:207], v[216:217], s[12:13], -v[206:207]
	v_fma_f64 v[242:243], v[216:217], s[26:27], v[104:105]
	v_fma_f64 v[222:223], v[216:217], s[14:15], v[210:211]
	v_fma_f64 v[210:211], v[216:217], s[14:15], -v[210:211]
	v_fma_f64 v[224:225], v[216:217], s[18:19], v[212:213]
	v_fma_f64 v[228:229], v[216:217], s[18:19], -v[212:213]
	;; [unrolled: 2-line block ×3, first 2 shown]
	v_add_f64 v[104:105], v[100:101], v[127:128]
	v_add_f64 v[127:128], v[100:101], v[194:195]
	v_add_f64 v[216:217], v[100:101], v[200:201]
	v_add_f64 v[212:213], v[100:101], v[186:187]
	v_add_f64 v[200:201], v[100:101], v[190:191]
	v_add_f64 v[190:191], v[112:113], v[178:179]
	v_add_f64 v[186:187], v[154:155], -v[166:167]
	v_add_f64 v[131:132], v[102:103], v[236:237]
	v_add_f64 v[236:237], v[116:117], -v[174:175]
	v_add_f64 v[238:239], v[102:103], v[220:221]
	v_add_f64 v[230:231], v[102:103], v[208:209]
	;; [unrolled: 1-line block ×4, first 2 shown]
	v_add_f64 v[202:203], v[114:115], -v[108:109]
	v_add_f64 v[222:223], v[102:103], v[222:223]
	v_add_f64 v[214:215], v[102:103], v[224:225]
	;; [unrolled: 1-line block ×3, first 2 shown]
	v_add_f64 v[184:185], v[156:157], -v[168:169]
	v_mul_f64 v[144:145], v[186:187], s[28:29]
	scratch_store_b64 off, v[131:132], off offset:176 ; 8-byte Folded Spill
	v_add_f64 v[131:132], v[100:101], v[204:205]
	v_add_f64 v[100:101], v[100:101], v[192:193]
	v_add_f64 v[204:205], v[112:113], -v[178:179]
	scratch_store_b64 off, v[104:105], off offset:128 ; 8-byte Folded Spill
	v_add_f64 v[104:105], v[102:103], v[129:130]
	v_add_f64 v[192:193], v[114:115], v[108:109]
	;; [unrolled: 1-line block ×6, first 2 shown]
	v_mul_f64 v[182:183], v[236:237], s[20:21]
	v_mul_f64 v[142:143], v[184:185], s[28:29]
	s_clause 0x1
	scratch_store_b64 off, v[131:132], off offset:168
	scratch_store_b64 off, v[100:101], off offset:144
	v_add_f64 v[131:132], v[102:103], v[242:243]
	v_add_f64 v[100:101], v[102:103], v[244:245]
	v_mul_f64 v[244:245], v[204:205], s[16:17]
	scratch_store_b64 off, v[104:105], off offset:136 ; 8-byte Folded Spill
	v_add_f64 v[104:105], v[102:103], v[206:207]
	v_add_f64 v[206:207], v[102:103], v[234:235]
	v_mul_f64 v[242:243], v[202:203], s[16:17]
	v_add_f64 v[234:235], v[118:119], -v[176:177]
	s_clause 0x1
	scratch_store_b64 off, v[131:132], off offset:160
	scratch_store_b64 off, v[100:101], off offset:152
	v_fma_f64 v[102:103], v[192:193], s[4:5], v[244:245]
	v_add_f64 v[131:132], v[160:161], v[164:165]
	v_fma_f64 v[100:101], v[190:191], s[4:5], -v[242:243]
	s_delay_alu instid0(VALU_DEP_3) | instskip(SKIP_1) | instid1(VALU_DEP_3)
	v_add_f64 v[102:103], v[102:103], v[129:130]
	v_mul_f64 v[129:130], v[234:235], s[20:21]
	v_add_f64 v[100:101], v[100:101], v[127:128]
	s_delay_alu instid0(VALU_DEP_2) | instskip(SKIP_1) | instid1(VALU_DEP_2)
	v_fma_f64 v[127:128], v[224:225], s[14:15], -v[129:130]
	v_fma_f64 v[129:130], v[224:225], s[14:15], v[129:130]
	v_add_f64 v[100:101], v[127:128], v[100:101]
	v_fma_f64 v[127:128], v[228:229], s[14:15], v[182:183]
	s_delay_alu instid0(VALU_DEP_1) | instskip(SKIP_1) | instid1(VALU_DEP_1)
	v_add_f64 v[102:103], v[127:128], v[102:103]
	v_fma_f64 v[127:128], v[246:247], s[18:19], -v[138:139]
	v_add_f64 v[100:101], v[127:128], v[100:101]
	v_fma_f64 v[127:128], v[248:249], s[18:19], v[140:141]
	s_delay_alu instid0(VALU_DEP_1) | instskip(SKIP_1) | instid1(VALU_DEP_1)
	v_add_f64 v[102:103], v[127:128], v[102:103]
	v_fma_f64 v[127:128], v[254:255], s[24:25], -v[142:143]
	v_add_f64 v[100:101], v[127:128], v[100:101]
	v_add_f64 v[127:128], v[156:157], v[168:169]
	s_delay_alu instid0(VALU_DEP_1) | instskip(NEXT) | instid1(VALU_DEP_1)
	v_fma_f64 v[194:195], v[127:128], s[24:25], v[144:145]
	v_add_f64 v[102:103], v[194:195], v[102:103]
	v_add_f64 v[194:195], v[160:161], -v[164:165]
	s_delay_alu instid0(VALU_DEP_1) | instskip(NEXT) | instid1(VALU_DEP_1)
	v_mul_f64 v[148:149], v[194:195], s[30:31]
	v_fma_f64 v[196:197], v[146:147], s[26:27], -v[148:149]
	s_delay_alu instid0(VALU_DEP_1) | instskip(SKIP_1) | instid1(VALU_DEP_1)
	v_add_f64 v[100:101], v[196:197], v[100:101]
	v_add_f64 v[196:197], v[158:159], -v[162:163]
	v_mul_f64 v[133:134], v[196:197], s[30:31]
	s_delay_alu instid0(VALU_DEP_1) | instskip(SKIP_1) | instid1(VALU_DEP_2)
	v_fma_f64 v[198:199], v[131:132], s[26:27], v[133:134]
	v_fma_f64 v[133:134], v[131:132], s[26:27], -v[133:134]
	v_add_f64 v[102:103], v[198:199], v[102:103]
	v_fma_f64 v[198:199], v[190:191], s[4:5], v[242:243]
	v_mul_f64 v[242:243], v[186:187], s[36:37]
	s_delay_alu instid0(VALU_DEP_2) | instskip(SKIP_2) | instid1(VALU_DEP_3)
	v_add_f64 v[106:107], v[198:199], v[106:107]
	v_fma_f64 v[198:199], v[192:193], s[4:5], -v[244:245]
	v_mul_f64 v[244:245], v[194:195], s[40:41]
	v_add_f64 v[106:107], v[129:130], v[106:107]
	s_delay_alu instid0(VALU_DEP_3) | instskip(SKIP_1) | instid1(VALU_DEP_1)
	v_add_f64 v[104:105], v[198:199], v[104:105]
	v_fma_f64 v[129:130], v[228:229], s[14:15], -v[182:183]
	v_add_f64 v[104:105], v[129:130], v[104:105]
	v_fma_f64 v[129:130], v[246:247], s[18:19], v[138:139]
	v_mul_f64 v[138:139], v[204:205], s[22:23]
	s_delay_alu instid0(VALU_DEP_2) | instskip(SKIP_1) | instid1(VALU_DEP_3)
	v_add_f64 v[106:107], v[129:130], v[106:107]
	v_fma_f64 v[129:130], v[248:249], s[18:19], -v[140:141]
	v_fma_f64 v[140:141], v[192:193], s[18:19], v[138:139]
	v_fma_f64 v[138:139], v[192:193], s[18:19], -v[138:139]
	s_delay_alu instid0(VALU_DEP_3) | instskip(SKIP_4) | instid1(VALU_DEP_4)
	v_add_f64 v[104:105], v[129:130], v[104:105]
	v_fma_f64 v[129:130], v[254:255], s[24:25], v[142:143]
	v_mul_f64 v[142:143], v[234:235], s[30:31]
	v_add_f64 v[140:141], v[140:141], v[238:239]
	v_add_f64 v[138:139], v[138:139], v[230:231]
	;; [unrolled: 1-line block ×3, first 2 shown]
	v_fma_f64 v[129:130], v[127:128], s[24:25], -v[144:145]
	v_fma_f64 v[144:145], v[224:225], s[26:27], -v[142:143]
	s_delay_alu instid0(VALU_DEP_2) | instskip(SKIP_1) | instid1(VALU_DEP_1)
	v_add_f64 v[129:130], v[129:130], v[104:105]
	v_fma_f64 v[104:105], v[146:147], s[26:27], v[148:149]
	v_add_f64 v[104:105], v[104:105], v[106:107]
	s_delay_alu instid0(VALU_DEP_3) | instskip(SKIP_1) | instid1(VALU_DEP_1)
	v_add_f64 v[106:107], v[133:134], v[129:130]
	v_mul_f64 v[129:130], v[202:203], s[22:23]
	v_fma_f64 v[133:134], v[190:191], s[18:19], -v[129:130]
	v_fma_f64 v[129:130], v[190:191], s[18:19], v[129:130]
	s_delay_alu instid0(VALU_DEP_2) | instskip(NEXT) | instid1(VALU_DEP_2)
	v_add_f64 v[133:134], v[133:134], v[240:241]
	v_add_f64 v[129:130], v[129:130], v[232:233]
	s_delay_alu instid0(VALU_DEP_2) | instskip(SKIP_1) | instid1(VALU_DEP_1)
	v_add_f64 v[133:134], v[144:145], v[133:134]
	v_mul_f64 v[144:145], v[236:237], s[30:31]
	v_fma_f64 v[148:149], v[228:229], s[26:27], v[144:145]
	s_delay_alu instid0(VALU_DEP_1) | instskip(SKIP_1) | instid1(VALU_DEP_1)
	v_add_f64 v[140:141], v[148:149], v[140:141]
	v_mul_f64 v[148:149], v[250:251], s[34:35]
	v_fma_f64 v[182:183], v[246:247], s[24:25], -v[148:149]
	s_delay_alu instid0(VALU_DEP_1) | instskip(SKIP_1) | instid1(VALU_DEP_1)
	v_add_f64 v[133:134], v[182:183], v[133:134]
	v_mul_f64 v[182:183], v[252:253], s[34:35]
	v_fma_f64 v[198:199], v[248:249], s[24:25], v[182:183]
	s_delay_alu instid0(VALU_DEP_1) | instskip(SKIP_1) | instid1(VALU_DEP_1)
	v_add_f64 v[140:141], v[198:199], v[140:141]
	v_mul_f64 v[198:199], v[184:185], s[36:37]
	v_fma_f64 v[238:239], v[254:255], s[14:15], -v[198:199]
	s_delay_alu instid0(VALU_DEP_1) | instskip(SKIP_1) | instid1(VALU_DEP_1)
	v_add_f64 v[133:134], v[238:239], v[133:134]
	v_fma_f64 v[238:239], v[127:128], s[14:15], v[242:243]
	v_add_f64 v[140:141], v[238:239], v[140:141]
	v_fma_f64 v[238:239], v[146:147], s[12:13], -v[244:245]
	s_delay_alu instid0(VALU_DEP_1) | instskip(SKIP_1) | instid1(VALU_DEP_1)
	v_add_f64 v[238:239], v[238:239], v[133:134]
	v_mul_f64 v[133:134], v[196:197], s[40:41]
	v_fma_f64 v[240:241], v[131:132], s[12:13], v[133:134]
	v_fma_f64 v[133:134], v[131:132], s[12:13], -v[133:134]
	s_delay_alu instid0(VALU_DEP_2) | instskip(SKIP_2) | instid1(VALU_DEP_2)
	v_add_f64 v[240:241], v[240:241], v[140:141]
	v_fma_f64 v[140:141], v[224:225], s[26:27], v[142:143]
	v_mul_f64 v[142:143], v[234:235], s[38:39]
	v_add_f64 v[129:130], v[140:141], v[129:130]
	v_fma_f64 v[140:141], v[228:229], s[26:27], -v[144:145]
	s_delay_alu instid0(VALU_DEP_3) | instskip(NEXT) | instid1(VALU_DEP_2)
	v_fma_f64 v[144:145], v[224:225], s[18:19], -v[142:143]
	v_add_f64 v[138:139], v[140:141], v[138:139]
	v_fma_f64 v[140:141], v[246:247], s[24:25], v[148:149]
	s_delay_alu instid0(VALU_DEP_1) | instskip(SKIP_1) | instid1(VALU_DEP_1)
	v_add_f64 v[129:130], v[140:141], v[129:130]
	v_fma_f64 v[140:141], v[248:249], s[24:25], -v[182:183]
	v_add_f64 v[138:139], v[140:141], v[138:139]
	v_fma_f64 v[140:141], v[254:255], s[14:15], v[198:199]
	s_delay_alu instid0(VALU_DEP_1) | instskip(SKIP_1) | instid1(VALU_DEP_1)
	v_add_f64 v[129:130], v[140:141], v[129:130]
	v_fma_f64 v[140:141], v[127:128], s[14:15], -v[242:243]
	v_add_f64 v[138:139], v[140:141], v[138:139]
	v_fma_f64 v[140:141], v[146:147], s[12:13], v[244:245]
	s_delay_alu instid0(VALU_DEP_2) | instskip(NEXT) | instid1(VALU_DEP_2)
	v_add_f64 v[232:233], v[133:134], v[138:139]
	v_add_f64 v[230:231], v[140:141], v[129:130]
	v_mul_f64 v[129:130], v[202:203], s[30:31]
	v_mul_f64 v[138:139], v[204:205], s[30:31]
	s_delay_alu instid0(VALU_DEP_2) | instskip(NEXT) | instid1(VALU_DEP_2)
	v_fma_f64 v[133:134], v[190:191], s[26:27], -v[129:130]
	v_fma_f64 v[140:141], v[192:193], s[26:27], v[138:139]
	v_fma_f64 v[129:130], v[190:191], s[26:27], v[129:130]
	v_fma_f64 v[138:139], v[192:193], s[26:27], -v[138:139]
	s_delay_alu instid0(VALU_DEP_4) | instskip(NEXT) | instid1(VALU_DEP_4)
	v_add_f64 v[133:134], v[133:134], v[226:227]
	v_add_f64 v[140:141], v[140:141], v[222:223]
	s_delay_alu instid0(VALU_DEP_4) | instskip(NEXT) | instid1(VALU_DEP_4)
	v_add_f64 v[129:130], v[129:130], v[220:221]
	v_add_f64 v[138:139], v[138:139], v[218:219]
	s_delay_alu instid0(VALU_DEP_4) | instskip(SKIP_1) | instid1(VALU_DEP_1)
	v_add_f64 v[133:134], v[144:145], v[133:134]
	v_mul_f64 v[144:145], v[236:237], s[38:39]
	v_fma_f64 v[148:149], v[228:229], s[18:19], v[144:145]
	s_delay_alu instid0(VALU_DEP_1) | instskip(SKIP_1) | instid1(VALU_DEP_1)
	v_add_f64 v[140:141], v[148:149], v[140:141]
	v_mul_f64 v[148:149], v[250:251], s[40:41]
	v_fma_f64 v[182:183], v[246:247], s[12:13], -v[148:149]
	s_delay_alu instid0(VALU_DEP_1) | instskip(SKIP_1) | instid1(VALU_DEP_1)
	v_add_f64 v[133:134], v[182:183], v[133:134]
	v_mul_f64 v[182:183], v[252:253], s[40:41]
	v_fma_f64 v[198:199], v[248:249], s[12:13], v[182:183]
	s_delay_alu instid0(VALU_DEP_1) | instskip(SKIP_1) | instid1(VALU_DEP_1)
	v_add_f64 v[140:141], v[198:199], v[140:141]
	v_mul_f64 v[198:199], v[184:185], s[16:17]
	v_fma_f64 v[222:223], v[254:255], s[4:5], -v[198:199]
	s_delay_alu instid0(VALU_DEP_1) | instskip(SKIP_1) | instid1(VALU_DEP_1)
	;; [unrolled: 8-line block ×3, first 2 shown]
	v_add_f64 v[242:243], v[242:243], v[133:134]
	v_mul_f64 v[133:134], v[196:197], s[28:29]
	v_fma_f64 v[244:245], v[131:132], s[24:25], v[133:134]
	v_fma_f64 v[133:134], v[131:132], s[24:25], -v[133:134]
	s_delay_alu instid0(VALU_DEP_2) | instskip(SKIP_2) | instid1(VALU_DEP_2)
	v_add_f64 v[244:245], v[244:245], v[140:141]
	v_fma_f64 v[140:141], v[224:225], s[18:19], v[142:143]
	v_mul_f64 v[142:143], v[234:235], s[40:41]
	v_add_f64 v[129:130], v[140:141], v[129:130]
	v_fma_f64 v[140:141], v[228:229], s[18:19], -v[144:145]
	s_delay_alu instid0(VALU_DEP_3) | instskip(NEXT) | instid1(VALU_DEP_2)
	v_fma_f64 v[144:145], v[224:225], s[12:13], -v[142:143]
	v_add_f64 v[138:139], v[140:141], v[138:139]
	v_fma_f64 v[140:141], v[246:247], s[12:13], v[148:149]
	s_delay_alu instid0(VALU_DEP_1) | instskip(SKIP_1) | instid1(VALU_DEP_1)
	v_add_f64 v[129:130], v[140:141], v[129:130]
	v_fma_f64 v[140:141], v[248:249], s[12:13], -v[182:183]
	v_add_f64 v[138:139], v[140:141], v[138:139]
	v_fma_f64 v[140:141], v[254:255], s[4:5], v[198:199]
	s_delay_alu instid0(VALU_DEP_1) | instskip(SKIP_2) | instid1(VALU_DEP_2)
	v_add_f64 v[129:130], v[140:141], v[129:130]
	v_fma_f64 v[140:141], v[127:128], s[4:5], -v[222:223]
	v_mul_f64 v[222:223], v[186:187], s[42:43]
	v_add_f64 v[138:139], v[140:141], v[138:139]
	v_fma_f64 v[140:141], v[146:147], s[24:25], v[226:227]
	v_mul_f64 v[226:227], v[194:195], s[44:45]
	s_delay_alu instid0(VALU_DEP_3) | instskip(NEXT) | instid1(VALU_DEP_3)
	v_add_f64 v[220:221], v[133:134], v[138:139]
	v_add_f64 v[218:219], v[140:141], v[129:130]
	v_mul_f64 v[129:130], v[202:203], s[34:35]
	v_mul_f64 v[138:139], v[204:205], s[34:35]
	s_delay_alu instid0(VALU_DEP_2) | instskip(NEXT) | instid1(VALU_DEP_2)
	v_fma_f64 v[133:134], v[190:191], s[24:25], -v[129:130]
	v_fma_f64 v[140:141], v[192:193], s[24:25], v[138:139]
	v_fma_f64 v[129:130], v[190:191], s[24:25], v[129:130]
	v_fma_f64 v[138:139], v[192:193], s[24:25], -v[138:139]
	s_delay_alu instid0(VALU_DEP_4) | instskip(NEXT) | instid1(VALU_DEP_4)
	v_add_f64 v[133:134], v[133:134], v[216:217]
	v_add_f64 v[140:141], v[140:141], v[214:215]
	s_delay_alu instid0(VALU_DEP_4) | instskip(NEXT) | instid1(VALU_DEP_4)
	v_add_f64 v[129:130], v[129:130], v[212:213]
	v_add_f64 v[138:139], v[138:139], v[210:211]
	s_delay_alu instid0(VALU_DEP_4) | instskip(SKIP_1) | instid1(VALU_DEP_1)
	v_add_f64 v[133:134], v[144:145], v[133:134]
	v_mul_f64 v[144:145], v[236:237], s[40:41]
	v_fma_f64 v[148:149], v[228:229], s[12:13], v[144:145]
	s_delay_alu instid0(VALU_DEP_1) | instskip(SKIP_1) | instid1(VALU_DEP_1)
	v_add_f64 v[140:141], v[148:149], v[140:141]
	v_mul_f64 v[148:149], v[250:251], s[20:21]
	v_fma_f64 v[182:183], v[246:247], s[14:15], -v[148:149]
	s_delay_alu instid0(VALU_DEP_1) | instskip(SKIP_1) | instid1(VALU_DEP_1)
	v_add_f64 v[133:134], v[182:183], v[133:134]
	v_mul_f64 v[182:183], v[252:253], s[20:21]
	v_fma_f64 v[198:199], v[248:249], s[14:15], v[182:183]
	s_delay_alu instid0(VALU_DEP_1) | instskip(SKIP_1) | instid1(VALU_DEP_1)
	v_add_f64 v[140:141], v[198:199], v[140:141]
	v_mul_f64 v[198:199], v[184:185], s[42:43]
	v_fma_f64 v[214:215], v[254:255], s[26:27], -v[198:199]
	s_delay_alu instid0(VALU_DEP_1) | instskip(SKIP_1) | instid1(VALU_DEP_1)
	v_add_f64 v[133:134], v[214:215], v[133:134]
	v_fma_f64 v[214:215], v[127:128], s[26:27], v[222:223]
	v_add_f64 v[140:141], v[214:215], v[140:141]
	v_fma_f64 v[214:215], v[146:147], s[4:5], -v[226:227]
	s_delay_alu instid0(VALU_DEP_1) | instskip(SKIP_1) | instid1(VALU_DEP_1)
	v_add_f64 v[214:215], v[214:215], v[133:134]
	v_mul_f64 v[133:134], v[196:197], s[44:45]
	v_fma_f64 v[216:217], v[131:132], s[4:5], v[133:134]
	v_fma_f64 v[133:134], v[131:132], s[4:5], -v[133:134]
	s_delay_alu instid0(VALU_DEP_2) | instskip(SKIP_2) | instid1(VALU_DEP_2)
	v_add_f64 v[216:217], v[216:217], v[140:141]
	v_fma_f64 v[140:141], v[224:225], s[12:13], v[142:143]
	v_mul_f64 v[142:143], v[234:235], s[16:17]
	v_add_f64 v[129:130], v[140:141], v[129:130]
	v_fma_f64 v[140:141], v[228:229], s[12:13], -v[144:145]
	s_delay_alu instid0(VALU_DEP_3) | instskip(NEXT) | instid1(VALU_DEP_2)
	v_fma_f64 v[144:145], v[224:225], s[4:5], -v[142:143]
	v_add_f64 v[138:139], v[140:141], v[138:139]
	v_fma_f64 v[140:141], v[246:247], s[14:15], v[148:149]
	s_delay_alu instid0(VALU_DEP_1) | instskip(SKIP_1) | instid1(VALU_DEP_1)
	v_add_f64 v[129:130], v[140:141], v[129:130]
	v_fma_f64 v[140:141], v[248:249], s[14:15], -v[182:183]
	v_add_f64 v[138:139], v[140:141], v[138:139]
	v_fma_f64 v[140:141], v[254:255], s[26:27], v[198:199]
	s_delay_alu instid0(VALU_DEP_1) | instskip(SKIP_3) | instid1(VALU_DEP_3)
	v_add_f64 v[129:130], v[140:141], v[129:130]
	v_fma_f64 v[140:141], v[127:128], s[26:27], -v[222:223]
	v_mul_f64 v[222:223], v[186:187], s[40:41]
	v_mul_f64 v[186:187], v[186:187], s[22:23]
	v_add_f64 v[138:139], v[140:141], v[138:139]
	v_fma_f64 v[140:141], v[146:147], s[4:5], v[226:227]
	v_mul_f64 v[226:227], v[194:195], s[22:23]
	v_mul_f64 v[194:195], v[194:195], s[36:37]
	s_delay_alu instid0(VALU_DEP_4) | instskip(NEXT) | instid1(VALU_DEP_4)
	v_add_f64 v[212:213], v[133:134], v[138:139]
	v_add_f64 v[210:211], v[140:141], v[129:130]
	v_mul_f64 v[129:130], v[202:203], s[36:37]
	v_mul_f64 v[138:139], v[204:205], s[36:37]
	s_delay_alu instid0(VALU_DEP_2) | instskip(NEXT) | instid1(VALU_DEP_2)
	v_fma_f64 v[133:134], v[190:191], s[14:15], -v[129:130]
	v_fma_f64 v[140:141], v[192:193], s[14:15], v[138:139]
	v_fma_f64 v[129:130], v[190:191], s[14:15], v[129:130]
	v_fma_f64 v[138:139], v[192:193], s[14:15], -v[138:139]
	s_delay_alu instid0(VALU_DEP_4) | instskip(NEXT) | instid1(VALU_DEP_4)
	v_add_f64 v[133:134], v[133:134], v[208:209]
	v_add_f64 v[140:141], v[140:141], v[206:207]
	s_delay_alu instid0(VALU_DEP_4) | instskip(NEXT) | instid1(VALU_DEP_3)
	v_add_f64 v[129:130], v[129:130], v[200:201]
	v_add_f64 v[133:134], v[144:145], v[133:134]
	v_mul_f64 v[144:145], v[236:237], s[16:17]
	s_delay_alu instid0(VALU_DEP_1) | instskip(NEXT) | instid1(VALU_DEP_1)
	v_fma_f64 v[148:149], v[228:229], s[4:5], v[144:145]
	v_add_f64 v[140:141], v[148:149], v[140:141]
	v_mul_f64 v[148:149], v[250:251], s[42:43]
	s_delay_alu instid0(VALU_DEP_1) | instskip(NEXT) | instid1(VALU_DEP_1)
	v_fma_f64 v[182:183], v[246:247], s[26:27], -v[148:149]
	v_add_f64 v[133:134], v[182:183], v[133:134]
	v_mul_f64 v[182:183], v[252:253], s[42:43]
	s_delay_alu instid0(VALU_DEP_1) | instskip(NEXT) | instid1(VALU_DEP_1)
	v_fma_f64 v[198:199], v[248:249], s[26:27], v[182:183]
	v_add_f64 v[140:141], v[198:199], v[140:141]
	v_mul_f64 v[198:199], v[184:185], s[40:41]
	s_delay_alu instid0(VALU_DEP_1) | instskip(NEXT) | instid1(VALU_DEP_1)
	v_fma_f64 v[206:207], v[254:255], s[12:13], -v[198:199]
	v_add_f64 v[133:134], v[206:207], v[133:134]
	v_fma_f64 v[206:207], v[127:128], s[12:13], v[222:223]
	s_delay_alu instid0(VALU_DEP_1) | instskip(SKIP_1) | instid1(VALU_DEP_1)
	v_add_f64 v[140:141], v[206:207], v[140:141]
	v_fma_f64 v[206:207], v[146:147], s[18:19], -v[226:227]
	v_add_f64 v[206:207], v[206:207], v[133:134]
	v_mul_f64 v[133:134], v[196:197], s[22:23]
	v_mul_f64 v[196:197], v[196:197], s[36:37]
	s_delay_alu instid0(VALU_DEP_2) | instskip(SKIP_1) | instid1(VALU_DEP_2)
	v_fma_f64 v[208:209], v[131:132], s[18:19], v[133:134]
	v_fma_f64 v[133:134], v[131:132], s[18:19], -v[133:134]
	v_add_f64 v[208:209], v[208:209], v[140:141]
	scratch_load_b64 v[140:141], off, off offset:176 ; 8-byte Folded Reload
	s_waitcnt vmcnt(0)
	v_add_f64 v[138:139], v[138:139], v[140:141]
	v_fma_f64 v[140:141], v[224:225], s[4:5], v[142:143]
	scratch_load_b64 v[142:143], off, off offset:160 ; 8-byte Folded Reload
	v_add_f64 v[129:130], v[140:141], v[129:130]
	v_fma_f64 v[140:141], v[228:229], s[4:5], -v[144:145]
	s_delay_alu instid0(VALU_DEP_1) | instskip(SKIP_1) | instid1(VALU_DEP_1)
	v_add_f64 v[138:139], v[140:141], v[138:139]
	v_fma_f64 v[140:141], v[246:247], s[26:27], v[148:149]
	v_add_f64 v[129:130], v[140:141], v[129:130]
	v_fma_f64 v[140:141], v[248:249], s[26:27], -v[182:183]
	s_delay_alu instid0(VALU_DEP_1) | instskip(SKIP_1) | instid1(VALU_DEP_1)
	v_add_f64 v[138:139], v[140:141], v[138:139]
	v_fma_f64 v[140:141], v[254:255], s[12:13], v[198:199]
	v_add_f64 v[129:130], v[140:141], v[129:130]
	v_fma_f64 v[140:141], v[127:128], s[12:13], -v[222:223]
	s_delay_alu instid0(VALU_DEP_1) | instskip(SKIP_1) | instid1(VALU_DEP_2)
	v_add_f64 v[138:139], v[140:141], v[138:139]
	v_fma_f64 v[140:141], v[146:147], s[18:19], v[226:227]
	v_add_f64 v[200:201], v[133:134], v[138:139]
	scratch_load_b64 v[138:139], off, off offset:168 ; 8-byte Folded Reload
	v_add_f64 v[198:199], v[140:141], v[129:130]
	v_mul_f64 v[129:130], v[202:203], s[40:41]
	v_mul_f64 v[202:203], v[252:253], s[44:45]
	s_delay_alu instid0(VALU_DEP_2) | instskip(SKIP_2) | instid1(VALU_DEP_2)
	v_fma_f64 v[133:134], v[190:191], s[12:13], -v[129:130]
	v_fma_f64 v[129:130], v[190:191], s[12:13], v[129:130]
	s_waitcnt vmcnt(0)
	v_add_f64 v[133:134], v[133:134], v[138:139]
	v_mul_f64 v[138:139], v[204:205], s[40:41]
	v_mul_f64 v[204:205], v[184:185], s[22:23]
	s_delay_alu instid0(VALU_DEP_2) | instskip(NEXT) | instid1(VALU_DEP_1)
	v_fma_f64 v[140:141], v[192:193], s[12:13], v[138:139]
	v_add_f64 v[140:141], v[140:141], v[142:143]
	v_mul_f64 v[142:143], v[234:235], s[28:29]
	s_delay_alu instid0(VALU_DEP_1) | instskip(NEXT) | instid1(VALU_DEP_1)
	v_fma_f64 v[144:145], v[224:225], s[24:25], -v[142:143]
	v_add_f64 v[133:134], v[144:145], v[133:134]
	v_mul_f64 v[144:145], v[236:237], s[28:29]
	s_delay_alu instid0(VALU_DEP_1) | instskip(NEXT) | instid1(VALU_DEP_1)
	v_fma_f64 v[148:149], v[228:229], s[24:25], v[144:145]
	v_add_f64 v[140:141], v[148:149], v[140:141]
	v_mul_f64 v[148:149], v[250:251], s[44:45]
	s_delay_alu instid0(VALU_DEP_1) | instskip(NEXT) | instid1(VALU_DEP_1)
	v_fma_f64 v[182:183], v[246:247], s[4:5], -v[148:149]
	v_add_f64 v[133:134], v[182:183], v[133:134]
	v_fma_f64 v[182:183], v[248:249], s[4:5], v[202:203]
	s_delay_alu instid0(VALU_DEP_1) | instskip(SKIP_1) | instid1(VALU_DEP_1)
	v_add_f64 v[140:141], v[182:183], v[140:141]
	v_fma_f64 v[182:183], v[254:255], s[18:19], -v[204:205]
	v_add_f64 v[133:134], v[182:183], v[133:134]
	v_fma_f64 v[182:183], v[127:128], s[18:19], v[186:187]
	v_fma_f64 v[127:128], v[127:128], s[18:19], -v[186:187]
	s_delay_alu instid0(VALU_DEP_2) | instskip(SKIP_1) | instid1(VALU_DEP_1)
	v_add_f64 v[140:141], v[182:183], v[140:141]
	v_fma_f64 v[182:183], v[146:147], s[14:15], -v[194:195]
	v_add_f64 v[182:183], v[182:183], v[133:134]
	v_fma_f64 v[133:134], v[131:132], s[14:15], v[196:197]
	v_fma_f64 v[131:132], v[131:132], s[14:15], -v[196:197]
	s_delay_alu instid0(VALU_DEP_2)
	v_add_f64 v[184:185], v[133:134], v[140:141]
	v_fma_f64 v[133:134], v[192:193], s[12:13], -v[138:139]
	v_fma_f64 v[138:139], v[224:225], s[24:25], v[142:143]
	scratch_load_b64 v[142:143], off, off offset:144 ; 8-byte Folded Reload
	v_fma_f64 v[140:141], v[228:229], s[24:25], -v[144:145]
	v_fma_f64 v[144:145], v[248:249], s[4:5], -v[202:203]
	s_waitcnt vmcnt(0)
	v_add_f64 v[129:130], v[129:130], v[142:143]
	scratch_load_b64 v[142:143], off, off offset:152 ; 8-byte Folded Reload
	v_add_f64 v[129:130], v[138:139], v[129:130]
	v_fma_f64 v[138:139], v[254:255], s[18:19], v[204:205]
	s_waitcnt vmcnt(0)
	v_add_f64 v[133:134], v[133:134], v[142:143]
	v_fma_f64 v[142:143], v[246:247], s[4:5], v[148:149]
	s_delay_alu instid0(VALU_DEP_2) | instskip(NEXT) | instid1(VALU_DEP_2)
	v_add_f64 v[133:134], v[140:141], v[133:134]
	v_add_f64 v[129:130], v[142:143], v[129:130]
	v_fma_f64 v[140:141], v[146:147], s[14:15], v[194:195]
	s_delay_alu instid0(VALU_DEP_3) | instskip(NEXT) | instid1(VALU_DEP_3)
	v_add_f64 v[133:134], v[144:145], v[133:134]
	v_add_f64 v[129:130], v[138:139], v[129:130]
	s_delay_alu instid0(VALU_DEP_2) | instskip(NEXT) | instid1(VALU_DEP_2)
	v_add_f64 v[133:134], v[127:128], v[133:134]
	v_add_f64 v[127:128], v[140:141], v[129:130]
	s_delay_alu instid0(VALU_DEP_2)
	v_add_f64 v[129:130], v[131:132], v[133:134]
	scratch_load_b64 v[131:132], off, off offset:128 ; 8-byte Folded Reload
	s_waitcnt vmcnt(0)
	v_add_f64 v[112:113], v[131:132], v[112:113]
	scratch_load_b64 v[131:132], off, off offset:136 ; 8-byte Folded Reload
	s_waitcnt vmcnt(0)
	s_waitcnt_vscnt null, 0x0
	s_barrier
	buffer_gl0_inv
	v_add_f64 v[112:113], v[112:113], v[116:117]
	s_delay_alu instid0(VALU_DEP_1) | instskip(NEXT) | instid1(VALU_DEP_1)
	v_add_f64 v[112:113], v[112:113], v[150:151]
	v_add_f64 v[112:113], v[112:113], v[154:155]
	s_delay_alu instid0(VALU_DEP_1) | instskip(NEXT) | instid1(VALU_DEP_1)
	v_add_f64 v[112:113], v[112:113], v[158:159]
	;; [unrolled: 3-line block ×3, first 2 shown]
	v_add_f64 v[112:113], v[112:113], v[170:171]
	s_delay_alu instid0(VALU_DEP_1) | instskip(SKIP_1) | instid1(VALU_DEP_2)
	v_add_f64 v[112:113], v[112:113], v[174:175]
	v_add_f64 v[114:115], v[131:132], v[114:115]
	;; [unrolled: 1-line block ×3, first 2 shown]
	s_delay_alu instid0(VALU_DEP_2) | instskip(NEXT) | instid1(VALU_DEP_1)
	v_add_f64 v[114:115], v[114:115], v[118:119]
	v_add_f64 v[114:115], v[114:115], v[152:153]
	s_delay_alu instid0(VALU_DEP_1) | instskip(NEXT) | instid1(VALU_DEP_1)
	v_add_f64 v[114:115], v[114:115], v[156:157]
	v_add_f64 v[114:115], v[114:115], v[160:161]
	s_delay_alu instid0(VALU_DEP_1) | instskip(NEXT) | instid1(VALU_DEP_1)
	;; [unrolled: 3-line block ×3, first 2 shown]
	v_add_f64 v[114:115], v[114:115], v[172:173]
	v_add_f64 v[114:115], v[114:115], v[176:177]
	s_delay_alu instid0(VALU_DEP_1) | instskip(SKIP_2) | instid1(VALU_DEP_1)
	v_add_f64 v[114:115], v[114:115], v[108:109]
	v_add_f64 v[108:109], v[112:113], v[180:181]
	v_lshrrev_b32_e32 v112, 2, v122
	v_mul_u32_u24_e32 v112, 52, v112
	s_delay_alu instid0(VALU_DEP_1) | instskip(NEXT) | instid1(VALU_DEP_1)
	v_or_b32_e32 v112, v112, v123
	v_lshl_add_u32 v112, v112, 4, 0
	v_add_f64 v[110:111], v[114:115], v[110:111]
	ds_store_b128 v112, v[238:241] offset:128
	ds_store_b128 v112, v[242:245] offset:192
	;; [unrolled: 1-line block ×12, first 2 shown]
	ds_store_b128 v112, v[108:111]
	scratch_load_b32 v100, off, off offset:112 ; 4-byte Folded Reload
	s_waitcnt vmcnt(0)
	v_sub_nc_u32_e32 v127, 0, v100
	scratch_load_b32 v100, off, off offset:116 ; 4-byte Folded Reload
	s_waitcnt vmcnt(0)
	v_sub_nc_u32_e32 v102, 0, v100
	;; [unrolled: 3-line block ×4, first 2 shown]
	s_and_saveexec_b32 s33, s1
	s_cbranch_execz .LBB0_23
; %bb.22:
	v_mul_f64 v[100:101], v[24:25], v[66:67]
	s_delay_alu instid0(VALU_DEP_1) | instskip(SKIP_1) | instid1(VALU_DEP_1)
	v_fma_f64 v[100:101], v[26:27], v[64:65], v[100:101]
	v_mul_f64 v[26:27], v[26:27], v[66:67]
	v_fma_f64 v[64:65], v[24:25], v[64:65], -v[26:27]
	v_mul_f64 v[24:25], v[12:13], v[74:75]
	v_mul_f64 v[26:27], v[34:35], v[82:83]
	s_delay_alu instid0(VALU_DEP_2) | instskip(SKIP_1) | instid1(VALU_DEP_3)
	v_fma_f64 v[24:25], v[14:15], v[72:73], v[24:25]
	v_mul_f64 v[14:15], v[14:15], v[74:75]
	v_fma_f64 v[26:27], v[32:33], v[80:81], -v[26:27]
	s_delay_alu instid0(VALU_DEP_2) | instskip(SKIP_2) | instid1(VALU_DEP_3)
	v_fma_f64 v[12:13], v[12:13], v[72:73], -v[14:15]
	v_mul_f64 v[14:15], v[32:33], v[82:83]
	v_mul_f64 v[32:33], v[28:29], v[70:71]
	v_add_f64 v[168:169], v[12:13], v[26:27]
	s_delay_alu instid0(VALU_DEP_3) | instskip(NEXT) | instid1(VALU_DEP_3)
	v_fma_f64 v[14:15], v[34:35], v[80:81], v[14:15]
	v_fma_f64 v[32:33], v[30:31], v[68:69], v[32:33]
	v_mul_f64 v[30:31], v[30:31], v[70:71]
	v_add_f64 v[162:163], v[12:13], -v[26:27]
	s_delay_alu instid0(VALU_DEP_4) | instskip(SKIP_1) | instid1(VALU_DEP_4)
	v_add_f64 v[166:167], v[24:25], -v[14:15]
	v_add_f64 v[160:161], v[24:25], v[14:15]
	v_fma_f64 v[30:31], v[28:29], v[68:69], -v[30:31]
	v_mul_f64 v[28:29], v[16:17], v[78:79]
	s_delay_alu instid0(VALU_DEP_4) | instskip(NEXT) | instid1(VALU_DEP_4)
	v_mul_f64 v[170:171], v[166:167], s[36:37]
	v_mul_f64 v[164:165], v[160:161], s[14:15]
	;; [unrolled: 1-line block ×3, first 2 shown]
	s_delay_alu instid0(VALU_DEP_4) | instskip(SKIP_2) | instid1(VALU_DEP_3)
	v_fma_f64 v[28:29], v[18:19], v[76:77], v[28:29]
	v_mul_f64 v[18:19], v[18:19], v[78:79]
	v_mul_f64 v[192:193], v[166:167], s[40:41]
	v_add_f64 v[148:149], v[32:33], v[28:29]
	s_delay_alu instid0(VALU_DEP_3) | instskip(SKIP_1) | instid1(VALU_DEP_3)
	v_fma_f64 v[16:17], v[16:17], v[76:77], -v[18:19]
	v_mul_f64 v[18:19], v[8:9], v[62:63]
	v_mul_f64 v[184:185], v[148:149], s[14:15]
	s_delay_alu instid0(VALU_DEP_3) | instskip(NEXT) | instid1(VALU_DEP_3)
	v_add_f64 v[150:151], v[30:31], -v[16:17]
	v_fma_f64 v[18:19], v[10:11], v[60:61], v[18:19]
	v_mul_f64 v[10:11], v[10:11], v[62:63]
	v_add_f64 v[154:155], v[30:31], v[16:17]
	s_delay_alu instid0(VALU_DEP_2) | instskip(SKIP_2) | instid1(VALU_DEP_2)
	v_fma_f64 v[34:35], v[8:9], v[60:61], -v[10:11]
	v_mul_f64 v[10:11], v[38:39], v[98:99]
	v_mul_f64 v[8:9], v[36:37], v[98:99]
	v_fma_f64 v[10:11], v[36:37], v[96:97], -v[10:11]
	v_mul_f64 v[36:37], v[20:21], v[58:59]
	s_delay_alu instid0(VALU_DEP_3) | instskip(SKIP_1) | instid1(VALU_DEP_4)
	v_fma_f64 v[8:9], v[38:39], v[96:97], v[8:9]
	v_mul_f64 v[38:39], v[50:51], v[94:95]
	v_add_f64 v[142:143], v[34:35], -v[10:11]
	s_delay_alu instid0(VALU_DEP_4)
	v_fma_f64 v[60:61], v[22:23], v[56:57], v[36:37]
	v_mul_f64 v[22:23], v[22:23], v[58:59]
	v_mul_f64 v[36:37], v[4:5], v[54:55]
	v_fma_f64 v[38:39], v[48:49], v[92:93], -v[38:39]
	v_add_f64 v[140:141], v[18:19], v[8:9]
	v_add_f64 v[144:145], v[18:19], -v[8:9]
	v_add_f64 v[146:147], v[34:35], v[10:11]
	v_fma_f64 v[56:57], v[20:21], v[56:57], -v[22:23]
	v_mul_f64 v[22:23], v[42:43], v[86:87]
	v_mul_f64 v[20:21], v[40:41], v[86:87]
	v_add_f64 v[58:59], v[64:65], -v[38:39]
	v_add_f64 v[86:87], v[64:65], v[38:39]
	v_mul_f64 v[180:181], v[140:141], s[24:25]
	v_mul_f64 v[182:183], v[144:145], s[34:35]
	v_fma_f64 v[22:23], v[40:41], v[84:85], -v[22:23]
	v_fma_f64 v[40:41], v[6:7], v[52:53], v[36:37]
	v_mul_f64 v[6:7], v[6:7], v[54:55]
	v_mul_f64 v[36:37], v[48:49], v[94:95]
	v_fma_f64 v[20:21], v[42:43], v[84:85], v[20:21]
	v_add_f64 v[131:132], v[56:57], -v[22:23]
	v_add_f64 v[138:139], v[56:57], v[22:23]
	v_fma_f64 v[42:43], v[4:5], v[52:53], -v[6:7]
	v_mul_f64 v[6:7], v[46:47], v[90:91]
	v_fma_f64 v[36:37], v[50:51], v[92:93], v[36:37]
	v_mul_f64 v[4:5], v[44:45], v[90:91]
	v_add_f64 v[129:130], v[60:61], v[20:21]
	v_add_f64 v[133:134], v[60:61], -v[20:21]
	v_fma_f64 v[6:7], v[44:45], v[88:89], -v[6:7]
	v_add_f64 v[44:45], v[100:101], v[36:37]
	v_fma_f64 v[4:5], v[46:47], v[88:89], v[4:5]
	v_mul_f64 v[176:177], v[129:130], s[26:27]
	v_mul_f64 v[178:179], v[133:134], s[30:31]
	v_add_f64 v[118:119], v[42:43], v[6:7]
	v_mul_f64 v[46:47], v[44:45], s[26:27]
	v_mul_f64 v[48:49], v[44:45], s[24:25]
	;; [unrolled: 1-line block ×6, first 2 shown]
	v_add_f64 v[116:117], v[40:41], -v[4:5]
	v_fma_f64 v[62:63], v[58:59], s[42:43], v[46:47]
	v_fma_f64 v[66:67], v[58:59], s[30:31], v[46:47]
	;; [unrolled: 1-line block ×12, first 2 shown]
	v_add_f64 v[44:45], v[100:101], -v[36:37]
	v_mul_f64 v[174:175], v[116:117], s[22:23]
	v_add_f64 v[62:63], v[2:3], v[62:63]
	v_add_f64 v[66:67], v[2:3], v[66:67]
	;; [unrolled: 1-line block ×7, first 2 shown]
	v_mul_f64 v[46:47], v[44:45], s[30:31]
	v_mul_f64 v[78:79], v[44:45], s[28:29]
	;; [unrolled: 1-line block ×6, first 2 shown]
	v_fma_f64 v[88:89], v[86:87], s[26:27], v[46:47]
	v_fma_f64 v[90:91], v[86:87], s[26:27], -v[46:47]
	v_fma_f64 v[92:93], v[86:87], s[24:25], v[78:79]
	v_fma_f64 v[78:79], v[86:87], s[24:25], -v[78:79]
	v_fma_f64 v[94:95], v[86:87], s[18:19], v[80:81]
	v_fma_f64 v[104:105], v[86:87], s[12:13], v[44:45]
	v_fma_f64 v[80:81], v[86:87], s[18:19], -v[80:81]
	v_fma_f64 v[96:97], v[86:87], s[14:15], v[82:83]
	v_fma_f64 v[82:83], v[86:87], s[14:15], -v[82:83]
	v_fma_f64 v[98:99], v[86:87], s[4:5], v[84:85]
	v_fma_f64 v[84:85], v[86:87], s[4:5], -v[84:85]
	v_fma_f64 v[86:87], v[86:87], s[12:13], -v[44:45]
	v_add_f64 v[44:45], v[2:3], v[100:101]
	v_add_f64 v[46:47], v[0:1], v[64:65]
	;; [unrolled: 1-line block ×20, first 2 shown]
	v_add_f64 v[0:1], v[42:43], -v[6:7]
	v_mul_f64 v[70:71], v[104:105], s[12:13]
	v_mul_f64 v[172:173], v[104:105], s[18:19]
	;; [unrolled: 1-line block ×3, first 2 shown]
	s_delay_alu instid0(VALU_DEP_3) | instskip(SKIP_1) | instid1(VALU_DEP_2)
	v_fma_f64 v[52:53], v[0:1], s[10:11], v[70:71]
	v_fma_f64 v[70:71], v[0:1], s[40:41], v[70:71]
	v_add_f64 v[52:53], v[52:53], v[62:63]
	v_mul_f64 v[62:63], v[116:117], s[40:41]
	s_delay_alu instid0(VALU_DEP_3) | instskip(SKIP_1) | instid1(VALU_DEP_3)
	v_add_f64 v[66:67], v[70:71], v[66:67]
	v_fma_f64 v[70:71], v[168:169], s[14:15], -v[170:171]
	v_fma_f64 v[54:55], v[118:119], s[12:13], v[62:63]
	v_fma_f64 v[62:63], v[118:119], s[12:13], -v[62:63]
	s_delay_alu instid0(VALU_DEP_2) | instskip(SKIP_1) | instid1(VALU_DEP_3)
	v_add_f64 v[54:55], v[54:55], v[64:65]
	v_mul_f64 v[64:65], v[129:130], s[24:25]
	v_add_f64 v[62:63], v[62:63], v[88:89]
	s_delay_alu instid0(VALU_DEP_2) | instskip(SKIP_1) | instid1(VALU_DEP_2)
	v_fma_f64 v[72:73], v[131:132], s[34:35], v[64:65]
	v_fma_f64 v[64:65], v[131:132], s[28:29], v[64:65]
	v_add_f64 v[52:53], v[72:73], v[52:53]
	v_mul_f64 v[72:73], v[133:134], s[28:29]
	s_delay_alu instid0(VALU_DEP_3) | instskip(NEXT) | instid1(VALU_DEP_2)
	v_add_f64 v[64:65], v[64:65], v[66:67]
	v_fma_f64 v[74:75], v[138:139], s[24:25], v[72:73]
	v_fma_f64 v[66:67], v[138:139], s[24:25], -v[72:73]
	v_mul_f64 v[72:73], v[116:117], s[36:37]
	s_delay_alu instid0(VALU_DEP_3) | instskip(SKIP_1) | instid1(VALU_DEP_4)
	v_add_f64 v[54:55], v[74:75], v[54:55]
	v_mul_f64 v[74:75], v[140:141], s[4:5]
	v_add_f64 v[62:63], v[66:67], v[62:63]
	s_delay_alu instid0(VALU_DEP_2) | instskip(SKIP_2) | instid1(VALU_DEP_3)
	v_fma_f64 v[76:77], v[142:143], s[16:17], v[74:75]
	v_fma_f64 v[66:67], v[142:143], s[44:45], v[74:75]
	v_mul_f64 v[74:75], v[129:130], s[4:5]
	v_add_f64 v[52:53], v[76:77], v[52:53]
	v_mul_f64 v[76:77], v[144:145], s[44:45]
	s_delay_alu instid0(VALU_DEP_4) | instskip(NEXT) | instid1(VALU_DEP_2)
	v_add_f64 v[64:65], v[66:67], v[64:65]
	v_fma_f64 v[86:87], v[146:147], s[4:5], v[76:77]
	v_fma_f64 v[66:67], v[146:147], s[4:5], -v[76:77]
	v_fma_f64 v[76:77], v[131:132], s[44:45], v[74:75]
	v_fma_f64 v[74:75], v[131:132], s[16:17], v[74:75]
	s_delay_alu instid0(VALU_DEP_4) | instskip(SKIP_2) | instid1(VALU_DEP_2)
	v_add_f64 v[54:55], v[86:87], v[54:55]
	v_mul_f64 v[86:87], v[148:149], s[18:19]
	v_add_f64 v[62:63], v[66:67], v[62:63]
	v_fma_f64 v[152:153], v[150:151], s[38:39], v[86:87]
	v_fma_f64 v[66:67], v[150:151], s[22:23], v[86:87]
	s_delay_alu instid0(VALU_DEP_2) | instskip(SKIP_1) | instid1(VALU_DEP_3)
	v_add_f64 v[52:53], v[152:153], v[52:53]
	v_add_f64 v[152:153], v[32:33], -v[28:29]
	v_add_f64 v[64:65], v[66:67], v[64:65]
	s_delay_alu instid0(VALU_DEP_2) | instskip(SKIP_1) | instid1(VALU_DEP_2)
	v_mul_f64 v[156:157], v[152:153], s[22:23]
	v_mul_f64 v[186:187], v[152:153], s[36:37]
	v_fma_f64 v[66:67], v[154:155], s[18:19], -v[156:157]
	v_fma_f64 v[158:159], v[154:155], s[18:19], v[156:157]
	s_delay_alu instid0(VALU_DEP_2) | instskip(SKIP_1) | instid1(VALU_DEP_3)
	v_add_f64 v[62:63], v[66:67], v[62:63]
	v_fma_f64 v[66:67], v[162:163], s[36:37], v[164:165]
	v_add_f64 v[158:159], v[158:159], v[54:55]
	v_fma_f64 v[54:55], v[162:163], s[20:21], v[164:165]
	v_mul_f64 v[164:165], v[160:161], s[18:19]
	v_add_f64 v[62:63], v[70:71], v[62:63]
	v_mul_f64 v[70:71], v[104:105], s[14:15]
	v_add_f64 v[64:65], v[66:67], v[64:65]
	v_add_f64 v[54:55], v[54:55], v[52:53]
	v_fma_f64 v[52:53], v[168:169], s[14:15], v[170:171]
	v_mul_f64 v[170:171], v[166:167], s[22:23]
	v_fma_f64 v[66:67], v[0:1], s[20:21], v[70:71]
	v_fma_f64 v[70:71], v[0:1], s[36:37], v[70:71]
	s_delay_alu instid0(VALU_DEP_4) | instskip(NEXT) | instid1(VALU_DEP_3)
	v_add_f64 v[52:53], v[52:53], v[158:159]
	v_add_f64 v[66:67], v[66:67], v[68:69]
	v_fma_f64 v[68:69], v[118:119], s[14:15], v[72:73]
	s_delay_alu instid0(VALU_DEP_4)
	v_add_f64 v[70:71], v[70:71], v[92:93]
	v_fma_f64 v[72:73], v[118:119], s[14:15], -v[72:73]
	v_mul_f64 v[92:93], v[133:134], s[40:41]
	v_add_f64 v[66:67], v[76:77], v[66:67]
	v_mul_f64 v[76:77], v[133:134], s[16:17]
	v_add_f64 v[68:69], v[68:69], v[90:91]
	v_add_f64 v[72:73], v[72:73], v[78:79]
	;; [unrolled: 1-line block ×3, first 2 shown]
	s_delay_alu instid0(VALU_DEP_4) | instskip(SKIP_2) | instid1(VALU_DEP_3)
	v_fma_f64 v[86:87], v[138:139], s[4:5], v[76:77]
	v_fma_f64 v[74:75], v[138:139], s[4:5], -v[76:77]
	v_fma_f64 v[76:77], v[168:169], s[18:19], -v[170:171]
	v_add_f64 v[68:69], v[86:87], v[68:69]
	v_mul_f64 v[86:87], v[140:141], s[26:27]
	s_delay_alu instid0(VALU_DEP_4) | instskip(NEXT) | instid1(VALU_DEP_2)
	v_add_f64 v[72:73], v[74:75], v[72:73]
	v_fma_f64 v[88:89], v[142:143], s[30:31], v[86:87]
	v_fma_f64 v[74:75], v[142:143], s[42:43], v[86:87]
	v_mul_f64 v[86:87], v[104:105], s[24:25]
	v_mul_f64 v[104:105], v[104:105], s[4:5]
	s_delay_alu instid0(VALU_DEP_4) | instskip(SKIP_2) | instid1(VALU_DEP_2)
	v_add_f64 v[66:67], v[88:89], v[66:67]
	v_mul_f64 v[88:89], v[144:145], s[42:43]
	v_add_f64 v[70:71], v[74:75], v[70:71]
	v_fma_f64 v[90:91], v[146:147], s[26:27], v[88:89]
	v_fma_f64 v[74:75], v[146:147], s[26:27], -v[88:89]
	v_mul_f64 v[88:89], v[116:117], s[34:35]
	s_delay_alu instid0(VALU_DEP_3) | instskip(SKIP_1) | instid1(VALU_DEP_4)
	v_add_f64 v[68:69], v[90:91], v[68:69]
	v_mul_f64 v[90:91], v[148:149], s[12:13]
	v_add_f64 v[72:73], v[74:75], v[72:73]
	s_delay_alu instid0(VALU_DEP_2) | instskip(SKIP_2) | instid1(VALU_DEP_3)
	v_fma_f64 v[156:157], v[150:151], s[10:11], v[90:91]
	v_fma_f64 v[74:75], v[150:151], s[40:41], v[90:91]
	v_mul_f64 v[90:91], v[129:130], s[12:13]
	v_add_f64 v[66:67], v[156:157], v[66:67]
	v_mul_f64 v[156:157], v[152:153], s[40:41]
	s_delay_alu instid0(VALU_DEP_4) | instskip(NEXT) | instid1(VALU_DEP_4)
	v_add_f64 v[70:71], v[74:75], v[70:71]
	v_fma_f64 v[78:79], v[131:132], s[10:11], v[90:91]
	v_fma_f64 v[90:91], v[131:132], s[40:41], v[90:91]
	s_delay_alu instid0(VALU_DEP_4) | instskip(SKIP_2) | instid1(VALU_DEP_3)
	v_fma_f64 v[74:75], v[154:155], s[12:13], -v[156:157]
	v_fma_f64 v[158:159], v[154:155], s[12:13], v[156:157]
	v_mul_f64 v[156:157], v[148:149], s[26:27]
	v_add_f64 v[74:75], v[74:75], v[72:73]
	v_fma_f64 v[72:73], v[162:163], s[22:23], v[164:165]
	s_delay_alu instid0(VALU_DEP_4) | instskip(SKIP_2) | instid1(VALU_DEP_4)
	v_add_f64 v[158:159], v[158:159], v[68:69]
	v_fma_f64 v[68:69], v[162:163], s[38:39], v[164:165]
	v_mul_f64 v[164:165], v[160:161], s[4:5]
	v_add_f64 v[72:73], v[72:73], v[70:71]
	v_add_f64 v[70:71], v[76:77], v[74:75]
	v_fma_f64 v[74:75], v[0:1], s[28:29], v[86:87]
	v_fma_f64 v[76:77], v[118:119], s[24:25], v[88:89]
	v_add_f64 v[68:69], v[68:69], v[66:67]
	v_fma_f64 v[66:67], v[168:169], s[18:19], v[170:171]
	v_mul_f64 v[170:171], v[166:167], s[44:45]
	v_fma_f64 v[86:87], v[0:1], s[34:35], v[86:87]
	v_fma_f64 v[88:89], v[118:119], s[24:25], -v[88:89]
	v_add_f64 v[74:75], v[74:75], v[100:101]
	v_add_f64 v[76:77], v[76:77], v[94:95]
	v_mul_f64 v[94:95], v[140:141], s[14:15]
	v_mul_f64 v[100:101], v[144:145], s[20:21]
	v_add_f64 v[66:67], v[66:67], v[158:159]
	v_mul_f64 v[158:159], v[152:153], s[42:43]
	v_add_f64 v[86:87], v[86:87], v[106:107]
	v_add_f64 v[88:89], v[88:89], v[108:109]
	v_mul_f64 v[106:107], v[116:117], s[16:17]
	v_mul_f64 v[108:109], v[129:130], s[14:15]
	v_add_f64 v[74:75], v[78:79], v[74:75]
	v_fma_f64 v[78:79], v[138:139], s[12:13], v[92:93]
	v_add_f64 v[86:87], v[90:91], v[86:87]
	v_fma_f64 v[90:91], v[138:139], s[12:13], -v[92:93]
	v_fma_f64 v[92:93], v[168:169], s[4:5], -v[170:171]
	s_delay_alu instid0(VALU_DEP_4) | instskip(SKIP_1) | instid1(VALU_DEP_4)
	v_add_f64 v[76:77], v[78:79], v[76:77]
	v_fma_f64 v[78:79], v[142:143], s[36:37], v[94:95]
	v_add_f64 v[88:89], v[90:91], v[88:89]
	v_fma_f64 v[90:91], v[142:143], s[20:21], v[94:95]
	s_delay_alu instid0(VALU_DEP_3) | instskip(SKIP_1) | instid1(VALU_DEP_3)
	v_add_f64 v[74:75], v[78:79], v[74:75]
	v_fma_f64 v[78:79], v[146:147], s[14:15], v[100:101]
	v_add_f64 v[86:87], v[90:91], v[86:87]
	v_fma_f64 v[90:91], v[146:147], s[14:15], -v[100:101]
	v_fma_f64 v[100:101], v[168:169], s[12:13], v[192:193]
	s_delay_alu instid0(VALU_DEP_4) | instskip(SKIP_1) | instid1(VALU_DEP_4)
	v_add_f64 v[76:77], v[78:79], v[76:77]
	v_fma_f64 v[78:79], v[150:151], s[30:31], v[156:157]
	v_add_f64 v[88:89], v[90:91], v[88:89]
	v_fma_f64 v[90:91], v[150:151], s[42:43], v[156:157]
	s_delay_alu instid0(VALU_DEP_3) | instskip(SKIP_1) | instid1(VALU_DEP_3)
	v_add_f64 v[74:75], v[78:79], v[74:75]
	v_fma_f64 v[78:79], v[154:155], s[26:27], v[158:159]
	v_add_f64 v[86:87], v[90:91], v[86:87]
	v_fma_f64 v[90:91], v[154:155], s[26:27], -v[158:159]
	s_delay_alu instid0(VALU_DEP_3) | instskip(SKIP_1) | instid1(VALU_DEP_3)
	v_add_f64 v[78:79], v[78:79], v[76:77]
	v_fma_f64 v[76:77], v[162:163], s[16:17], v[164:165]
	v_add_f64 v[90:91], v[90:91], v[88:89]
	v_fma_f64 v[88:89], v[162:163], s[44:45], v[164:165]
	s_delay_alu instid0(VALU_DEP_3) | instskip(SKIP_1) | instid1(VALU_DEP_3)
	v_add_f64 v[76:77], v[76:77], v[74:75]
	v_fma_f64 v[74:75], v[168:169], s[4:5], v[170:171]
	v_add_f64 v[88:89], v[88:89], v[86:87]
	v_add_f64 v[86:87], v[92:93], v[90:91]
	v_fma_f64 v[90:91], v[0:1], s[42:43], v[194:195]
	s_delay_alu instid0(VALU_DEP_4) | instskip(SKIP_1) | instid1(VALU_DEP_3)
	v_add_f64 v[74:75], v[74:75], v[78:79]
	v_fma_f64 v[78:79], v[0:1], s[22:23], v[172:173]
	v_add_f64 v[90:91], v[90:91], v[110:111]
	v_mul_f64 v[110:111], v[133:134], s[20:21]
	s_delay_alu instid0(VALU_DEP_3) | instskip(SKIP_1) | instid1(VALU_DEP_1)
	v_add_f64 v[78:79], v[78:79], v[80:81]
	v_fma_f64 v[80:81], v[118:119], s[18:19], -v[174:175]
	v_add_f64 v[80:81], v[80:81], v[84:85]
	v_fma_f64 v[84:85], v[131:132], s[30:31], v[176:177]
	s_delay_alu instid0(VALU_DEP_1) | instskip(SKIP_1) | instid1(VALU_DEP_1)
	v_add_f64 v[78:79], v[84:85], v[78:79]
	v_fma_f64 v[84:85], v[138:139], s[26:27], -v[178:179]
	v_add_f64 v[80:81], v[84:85], v[80:81]
	v_fma_f64 v[84:85], v[142:143], s[34:35], v[180:181]
	s_delay_alu instid0(VALU_DEP_1) | instskip(SKIP_1) | instid1(VALU_DEP_1)
	;; [unrolled: 5-line block ×4, first 2 shown]
	v_add_f64 v[80:81], v[80:81], v[78:79]
	v_fma_f64 v[78:79], v[168:169], s[12:13], -v[192:193]
	v_add_f64 v[78:79], v[78:79], v[84:85]
	v_fma_f64 v[84:85], v[0:1], s[30:31], v[194:195]
	s_delay_alu instid0(VALU_DEP_1) | instskip(SKIP_2) | instid1(VALU_DEP_2)
	v_add_f64 v[84:85], v[84:85], v[112:113]
	v_mul_f64 v[112:113], v[116:117], s[30:31]
	v_mul_f64 v[116:117], v[148:149], s[24:25]
	v_fma_f64 v[196:197], v[118:119], s[26:27], -v[112:113]
	v_fma_f64 v[92:93], v[118:119], s[26:27], v[112:113]
	v_mul_f64 v[112:113], v[140:141], s[18:19]
	s_delay_alu instid0(VALU_DEP_3) | instskip(SKIP_1) | instid1(VALU_DEP_4)
	v_add_f64 v[82:83], v[196:197], v[82:83]
	v_mul_f64 v[196:197], v[129:130], s[18:19]
	v_add_f64 v[92:93], v[92:93], v[96:97]
	v_mul_f64 v[129:130], v[152:153], s[28:29]
	s_delay_alu instid0(VALU_DEP_3) | instskip(SKIP_1) | instid1(VALU_DEP_2)
	v_fma_f64 v[198:199], v[131:132], s[38:39], v[196:197]
	v_fma_f64 v[94:95], v[131:132], s[22:23], v[196:197]
	v_add_f64 v[84:85], v[198:199], v[84:85]
	v_mul_f64 v[198:199], v[133:134], s[38:39]
	s_delay_alu instid0(VALU_DEP_3) | instskip(SKIP_1) | instid1(VALU_DEP_3)
	v_add_f64 v[90:91], v[94:95], v[90:91]
	v_mul_f64 v[133:134], v[160:161], s[26:27]
	v_fma_f64 v[200:201], v[138:139], s[18:19], -v[198:199]
	v_fma_f64 v[94:95], v[138:139], s[18:19], v[198:199]
	s_delay_alu instid0(VALU_DEP_2) | instskip(SKIP_1) | instid1(VALU_DEP_3)
	v_add_f64 v[82:83], v[200:201], v[82:83]
	v_mul_f64 v[200:201], v[140:141], s[12:13]
	v_add_f64 v[92:93], v[94:95], v[92:93]
	v_mul_f64 v[140:141], v[166:167], s[30:31]
	s_delay_alu instid0(VALU_DEP_3) | instskip(SKIP_1) | instid1(VALU_DEP_2)
	v_fma_f64 v[202:203], v[142:143], s[40:41], v[200:201]
	v_fma_f64 v[94:95], v[142:143], s[10:11], v[200:201]
	v_add_f64 v[84:85], v[202:203], v[84:85]
	v_mul_f64 v[202:203], v[144:145], s[40:41]
	s_delay_alu instid0(VALU_DEP_3) | instskip(NEXT) | instid1(VALU_DEP_2)
	v_add_f64 v[90:91], v[94:95], v[90:91]
	v_fma_f64 v[204:205], v[146:147], s[12:13], -v[202:203]
	v_fma_f64 v[94:95], v[146:147], s[12:13], v[202:203]
	s_delay_alu instid0(VALU_DEP_2) | instskip(SKIP_1) | instid1(VALU_DEP_3)
	v_add_f64 v[82:83], v[204:205], v[82:83]
	v_mul_f64 v[204:205], v[148:149], s[4:5]
	v_add_f64 v[92:93], v[94:95], v[92:93]
	s_delay_alu instid0(VALU_DEP_2) | instskip(SKIP_1) | instid1(VALU_DEP_2)
	v_fma_f64 v[206:207], v[150:151], s[16:17], v[204:205]
	v_fma_f64 v[94:95], v[150:151], s[44:45], v[204:205]
	v_add_f64 v[84:85], v[206:207], v[84:85]
	v_mul_f64 v[206:207], v[152:153], s[16:17]
	s_delay_alu instid0(VALU_DEP_3) | instskip(NEXT) | instid1(VALU_DEP_2)
	v_add_f64 v[90:91], v[94:95], v[90:91]
	v_fma_f64 v[208:209], v[154:155], s[4:5], -v[206:207]
	v_fma_f64 v[94:95], v[154:155], s[4:5], v[206:207]
	s_delay_alu instid0(VALU_DEP_2) | instskip(SKIP_1) | instid1(VALU_DEP_3)
	v_add_f64 v[82:83], v[208:209], v[82:83]
	v_mul_f64 v[208:209], v[160:161], s[24:25]
	v_add_f64 v[94:95], v[94:95], v[92:93]
	s_delay_alu instid0(VALU_DEP_2) | instskip(SKIP_1) | instid1(VALU_DEP_2)
	v_fma_f64 v[210:211], v[162:163], s[28:29], v[208:209]
	v_fma_f64 v[92:93], v[162:163], s[34:35], v[208:209]
	v_add_f64 v[84:85], v[210:211], v[84:85]
	v_mul_f64 v[210:211], v[166:167], s[28:29]
	s_delay_alu instid0(VALU_DEP_3) | instskip(NEXT) | instid1(VALU_DEP_2)
	v_add_f64 v[92:93], v[92:93], v[90:91]
	v_fma_f64 v[96:97], v[168:169], s[24:25], v[210:211]
	v_fma_f64 v[212:213], v[168:169], s[24:25], -v[210:211]
	s_delay_alu instid0(VALU_DEP_2) | instskip(SKIP_2) | instid1(VALU_DEP_4)
	v_add_f64 v[90:91], v[96:97], v[94:95]
	v_fma_f64 v[94:95], v[0:1], s[38:39], v[172:173]
	v_fma_f64 v[96:97], v[118:119], s[18:19], v[174:175]
	v_add_f64 v[82:83], v[212:213], v[82:83]
	s_delay_alu instid0(VALU_DEP_3) | instskip(NEXT) | instid1(VALU_DEP_3)
	v_add_f64 v[94:95], v[94:95], v[114:115]
	v_add_f64 v[96:97], v[96:97], v[98:99]
	v_fma_f64 v[98:99], v[131:132], s[42:43], v[176:177]
	v_mul_f64 v[114:115], v[144:145], s[22:23]
	s_delay_alu instid0(VALU_DEP_2) | instskip(SKIP_1) | instid1(VALU_DEP_1)
	v_add_f64 v[94:95], v[98:99], v[94:95]
	v_fma_f64 v[98:99], v[138:139], s[26:27], v[178:179]
	v_add_f64 v[96:97], v[98:99], v[96:97]
	v_fma_f64 v[98:99], v[142:143], s[28:29], v[180:181]
	s_delay_alu instid0(VALU_DEP_1) | instskip(SKIP_1) | instid1(VALU_DEP_1)
	v_add_f64 v[94:95], v[98:99], v[94:95]
	v_fma_f64 v[98:99], v[146:147], s[24:25], v[182:183]
	v_add_f64 v[96:97], v[98:99], v[96:97]
	v_fma_f64 v[98:99], v[150:151], s[20:21], v[184:185]
	s_delay_alu instid0(VALU_DEP_1) | instskip(SKIP_1) | instid1(VALU_DEP_1)
	v_add_f64 v[94:95], v[98:99], v[94:95]
	v_fma_f64 v[98:99], v[154:155], s[14:15], v[186:187]
	v_add_f64 v[98:99], v[98:99], v[96:97]
	v_fma_f64 v[96:97], v[162:163], s[10:11], v[190:191]
	s_delay_alu instid0(VALU_DEP_1) | instskip(NEXT) | instid1(VALU_DEP_3)
	v_add_f64 v[96:97], v[96:97], v[94:95]
	v_add_f64 v[94:95], v[100:101], v[98:99]
	v_fma_f64 v[98:99], v[0:1], s[16:17], v[104:105]
	v_fma_f64 v[0:1], v[0:1], s[44:45], v[104:105]
	s_delay_alu instid0(VALU_DEP_2) | instskip(SKIP_1) | instid1(VALU_DEP_3)
	v_add_f64 v[2:3], v[98:99], v[2:3]
	v_fma_f64 v[98:99], v[118:119], s[4:5], -v[106:107]
	v_add_f64 v[0:1], v[0:1], v[48:49]
	s_delay_alu instid0(VALU_DEP_2) | instskip(SKIP_1) | instid1(VALU_DEP_1)
	v_add_f64 v[58:59], v[98:99], v[58:59]
	v_fma_f64 v[98:99], v[131:132], s[20:21], v[108:109]
	v_add_f64 v[2:3], v[98:99], v[2:3]
	v_fma_f64 v[98:99], v[138:139], s[14:15], -v[110:111]
	s_delay_alu instid0(VALU_DEP_1) | instskip(SKIP_1) | instid1(VALU_DEP_1)
	v_add_f64 v[58:59], v[98:99], v[58:59]
	v_fma_f64 v[98:99], v[142:143], s[22:23], v[112:113]
	v_add_f64 v[2:3], v[98:99], v[2:3]
	v_fma_f64 v[98:99], v[146:147], s[18:19], -v[114:115]
	s_delay_alu instid0(VALU_DEP_1) | instskip(SKIP_1) | instid1(VALU_DEP_1)
	;; [unrolled: 5-line block ×3, first 2 shown]
	v_add_f64 v[58:59], v[98:99], v[58:59]
	v_fma_f64 v[98:99], v[162:163], s[30:31], v[133:134]
	v_add_f64 v[100:101], v[98:99], v[2:3]
	v_fma_f64 v[2:3], v[168:169], s[26:27], -v[140:141]
	s_delay_alu instid0(VALU_DEP_1) | instskip(SKIP_2) | instid1(VALU_DEP_2)
	v_add_f64 v[98:99], v[2:3], v[58:59]
	v_add_f64 v[2:3], v[44:45], v[40:41]
	;; [unrolled: 1-line block ×4, first 2 shown]
	s_delay_alu instid0(VALU_DEP_2) | instskip(NEXT) | instid1(VALU_DEP_2)
	v_add_f64 v[40:41], v[40:41], v[56:57]
	v_add_f64 v[2:3], v[2:3], v[18:19]
	s_delay_alu instid0(VALU_DEP_2) | instskip(NEXT) | instid1(VALU_DEP_2)
	v_add_f64 v[18:19], v[40:41], v[34:35]
	v_add_f64 v[2:3], v[2:3], v[32:33]
	;; [unrolled: 3-line block ×4, first 2 shown]
	s_delay_alu instid0(VALU_DEP_2) | instskip(SKIP_1) | instid1(VALU_DEP_3)
	v_add_f64 v[12:13], v[12:13], v[26:27]
	v_fma_f64 v[14:15], v[146:147], s[18:19], v[114:115]
	v_add_f64 v[2:3], v[2:3], v[28:29]
	s_delay_alu instid0(VALU_DEP_3) | instskip(NEXT) | instid1(VALU_DEP_2)
	v_add_f64 v[12:13], v[12:13], v[16:17]
	v_add_f64 v[2:3], v[2:3], v[8:9]
	s_delay_alu instid0(VALU_DEP_2) | instskip(SKIP_2) | instid1(VALU_DEP_4)
	v_add_f64 v[8:9], v[12:13], v[10:11]
	v_fma_f64 v[10:11], v[138:139], s[14:15], v[110:111]
	v_fma_f64 v[12:13], v[142:143], s[38:39], v[112:113]
	v_add_f64 v[2:3], v[2:3], v[20:21]
	s_delay_alu instid0(VALU_DEP_4) | instskip(NEXT) | instid1(VALU_DEP_2)
	v_add_f64 v[8:9], v[8:9], v[22:23]
	v_add_f64 v[2:3], v[2:3], v[4:5]
	s_delay_alu instid0(VALU_DEP_2) | instskip(SKIP_1) | instid1(VALU_DEP_3)
	v_add_f64 v[6:7], v[8:9], v[6:7]
	v_fma_f64 v[8:9], v[131:132], s[36:37], v[108:109]
	v_add_f64 v[4:5], v[2:3], v[36:37]
	s_delay_alu instid0(VALU_DEP_3) | instskip(SKIP_1) | instid1(VALU_DEP_4)
	v_add_f64 v[2:3], v[6:7], v[38:39]
	v_fma_f64 v[6:7], v[118:119], s[4:5], v[106:107]
	v_add_f64 v[0:1], v[8:9], v[0:1]
	v_fma_f64 v[8:9], v[150:151], s[34:35], v[116:117]
	s_delay_alu instid0(VALU_DEP_3) | instskip(NEXT) | instid1(VALU_DEP_3)
	v_add_f64 v[6:7], v[6:7], v[50:51]
	v_add_f64 v[0:1], v[12:13], v[0:1]
	v_fma_f64 v[12:13], v[162:163], s[42:43], v[133:134]
	s_delay_alu instid0(VALU_DEP_3) | instskip(SKIP_1) | instid1(VALU_DEP_4)
	v_add_f64 v[6:7], v[10:11], v[6:7]
	v_fma_f64 v[10:11], v[154:155], s[24:25], v[129:130]
	v_add_f64 v[0:1], v[8:9], v[0:1]
	s_delay_alu instid0(VALU_DEP_3) | instskip(SKIP_1) | instid1(VALU_DEP_3)
	v_add_f64 v[6:7], v[14:15], v[6:7]
	v_fma_f64 v[14:15], v[168:169], s[26:27], v[140:141]
	v_add_f64 v[8:9], v[12:13], v[0:1]
	v_lshrrev_b32_e32 v0, 2, v126
	s_delay_alu instid0(VALU_DEP_1) | instskip(NEXT) | instid1(VALU_DEP_1)
	v_mul_lo_u32 v0, v0, 52
	v_or_b32_e32 v0, v0, v123
	s_delay_alu instid0(VALU_DEP_1) | instskip(SKIP_1) | instid1(VALU_DEP_1)
	v_lshl_add_u32 v0, v0, 4, 0
	v_add_f64 v[6:7], v[10:11], v[6:7]
	v_add_f64 v[6:7], v[14:15], v[6:7]
	ds_store_b128 v0, v[78:81] offset:128
	ds_store_b128 v0, v[82:85] offset:192
	ds_store_b128 v0, v[86:89] offset:256
	ds_store_b128 v0, v[70:73] offset:320
	ds_store_b128 v0, v[62:65] offset:384
	ds_store_b128 v0, v[52:55] offset:448
	ds_store_b128 v0, v[66:69] offset:512
	ds_store_b128 v0, v[74:77] offset:576
	ds_store_b128 v0, v[90:93] offset:640
	ds_store_b128 v0, v[94:97] offset:704
	ds_store_b128 v0, v[98:101] offset:64
	ds_store_b128 v0, v[2:5]
	ds_store_b128 v0, v[6:9] offset:768
.LBB0_23:
	s_or_b32 exec_lo, exec_lo, s33
	v_and_b32_e32 v0, 0xff, v136
	v_mul_u32_u24_e32 v1, 6, v122
	s_waitcnt lgkmcnt(0)
	s_barrier
	buffer_gl0_inv
	v_mul_lo_u16 v0, 0x4f, v0
	v_dual_mov_b32 v138, 0 :: v_dual_lshlrev_b32 v1, 4, v1
	v_lshl_add_u32 v212, v126, 4, 0
	v_lshl_add_u32 v211, v136, 4, 0
	s_delay_alu instid0(VALU_DEP_4)
	v_lshrrev_b16 v0, 12, v0
	s_clause 0x4
	global_load_b128 v[28:31], v1, s[8:9] offset:800
	global_load_b128 v[24:27], v1, s[8:9] offset:816
	;; [unrolled: 1-line block ×5, first 2 shown]
	v_lshl_add_u32 v210, v135, 4, 0
	v_mul_lo_u16 v0, v0, 52
	v_lshlrev_b64 v[131:132], 4, v[137:138]
	v_dual_mov_b32 v142, v138 :: v_dual_lshlrev_b32 v133, 1, v126
	s_mov_b32 s20, 0x37e14327
	s_delay_alu instid0(VALU_DEP_3) | instskip(SKIP_1) | instid1(VALU_DEP_3)
	v_sub_nc_u16 v0, v136, v0
	s_mov_b32 s4, 0x36b3c0b5
	v_add_co_u32 v137, s1, s8, v131
	s_delay_alu instid0(VALU_DEP_1) | instskip(NEXT) | instid1(VALU_DEP_3)
	v_add_co_ci_u32_e64 v150, s1, s9, v132, s1
	v_dual_mov_b32 v134, v138 :: v_dual_and_b32 v123, 0xff, v0
	s_mov_b32 s24, 0xe976ee23
	s_mov_b32 s21, 0x3fe948f6
	;; [unrolled: 1-line block ×3, first 2 shown]
	s_delay_alu instid0(VALU_DEP_1)
	v_mul_u32_u24_e32 v0, 6, v123
	v_lshlrev_b64 v[133:134], 4, v[133:134]
	s_mov_b32 s25, 0xbfe11646
	s_mov_b32 s10, 0x429ad128
	;; [unrolled: 1-line block ×3, first 2 shown]
	v_lshlrev_b32_e32 v0, 4, v0
	s_mov_b32 s12, 0xaaaaaaaa
	s_mov_b32 s18, 0x5476071b
	s_clause 0x6
	global_load_b128 v[12:15], v1, s[8:9] offset:848
	global_load_b128 v[40:43], v0, s[8:9] offset:800
	;; [unrolled: 1-line block ×7, first 2 shown]
	scratch_load_b32 v0, off, off offset:80 ; 4-byte Folded Reload
	s_mov_b32 s22, 0xb247c609
	s_mov_b32 s13, 0xbff2aaaa
	;; [unrolled: 1-line block ×10, first 2 shown]
	v_mov_b32_e32 v140, v138
	s_waitcnt vmcnt(0)
	v_add_nc_u32_e32 v130, v0, v102
	scratch_load_b32 v0, off, off offset:84 ; 4-byte Folded Reload
	s_waitcnt vmcnt(0)
	v_add_nc_u32_e32 v129, v0, v103
	ds_load_b128 v[8:11], v188
	ds_load_b128 v[100:103], v188 offset:3328
	ds_load_b128 v[108:111], v188 offset:12480
	;; [unrolled: 1-line block ×3, first 2 shown]
	ds_load_b128 v[4:7], v212
	ds_load_b128 v[0:3], v211
	ds_load_b128 v[104:107], v188 offset:5824
	ds_load_b128 v[76:79], v188 offset:4160
	;; [unrolled: 1-line block ×12, first 2 shown]
	ds_load_b128 v[151:154], v210
	ds_load_b128 v[155:158], v130
	;; [unrolled: 1-line block ×3, first 2 shown]
	s_clause 0x2
	scratch_load_b64 v[143:144], off, off offset:72
	scratch_load_b64 v[145:146], off, off offset:64
	;; [unrolled: 1-line block ×3, first 2 shown]
	s_waitcnt vmcnt(0)
	v_dual_mov_b32 v148, v138 :: v_dual_lshlrev_b32 v139, 1, v136
	v_dual_mov_b32 v144, v138 :: v_dual_lshlrev_b32 v141, 1, v135
	v_mov_b32_e32 v146, v138
	s_waitcnt lgkmcnt(14)
	v_mul_f64 v[177:178], v[106:107], v[26:27]
	v_lshlrev_b64 v[139:140], 4, v[139:140]
	s_waitcnt lgkmcnt(13)
	v_mul_f64 v[194:195], v[78:79], v[42:43]
	v_lshlrev_b64 v[141:142], 4, v[141:142]
	s_waitcnt lgkmcnt(10)
	v_mul_f64 v[185:186], v[90:91], v[14:15]
	v_mul_f64 v[190:191], v[88:89], v[14:15]
	v_mul_f64 v[175:176], v[102:103], v[30:31]
	s_waitcnt lgkmcnt(6)
	v_mul_f64 v[167:168], v[118:119], v[22:23]
	v_mul_f64 v[169:170], v[116:117], v[22:23]
	v_mul_f64 v[171:172], v[110:111], v[34:35]
	;; [unrolled: 4-line block ×3, first 2 shown]
	v_mul_f64 v[26:27], v[104:105], v[26:27]
	v_mul_f64 v[179:180], v[94:95], v[34:35]
	;; [unrolled: 1-line block ×5, first 2 shown]
	s_waitcnt lgkmcnt(0)
	v_mul_f64 v[183:184], v[159:160], v[18:19]
	v_mul_f64 v[42:43], v[76:77], v[42:43]
	;; [unrolled: 1-line block ×13, first 2 shown]
	s_barrier
	buffer_gl0_inv
	v_fma_f64 v[76:77], v[76:77], v[40:41], -v[194:195]
	v_fma_f64 v[88:89], v[88:89], v[12:13], -v[185:186]
	v_fma_f64 v[90:91], v[90:91], v[12:13], v[190:191]
	v_fma_f64 v[116:117], v[116:117], v[20:21], -v[167:168]
	v_fma_f64 v[118:119], v[118:119], v[20:21], v[169:170]
	;; [unrolled: 2-line block ×3, first 2 shown]
	v_fma_f64 v[40:41], v[78:79], v[40:41], v[42:43]
	v_fma_f64 v[42:43], v[80:81], v[36:37], -v[196:197]
	v_fma_f64 v[36:37], v[82:83], v[36:37], v[38:39]
	v_fma_f64 v[38:39], v[96:97], v[52:53], -v[198:199]
	v_fma_f64 v[52:53], v[98:99], v[52:53], v[54:55]
	v_fma_f64 v[54:55], v[84:85], v[56:57], -v[200:201]
	v_fma_f64 v[56:57], v[86:87], v[56:57], v[58:59]
	v_fma_f64 v[58:59], v[68:69], v[16:17], -v[192:193]
	v_fma_f64 v[60:61], v[60:61], v[48:49], -v[204:205]
	v_fma_f64 v[48:49], v[62:63], v[48:49], v[50:51]
	v_lshlrev_b64 v[143:144], 4, v[143:144]
	v_lshlrev_b64 v[145:146], 4, v[145:146]
	;; [unrolled: 1-line block ×3, first 2 shown]
	v_add_co_u32 v147, s1, 0x16a0, v137
	s_delay_alu instid0(VALU_DEP_1) | instskip(SKIP_1) | instid1(VALU_DEP_1)
	v_add_co_ci_u32_e64 v148, s1, 0, v150, s1
	v_add_co_u32 v149, s1, 0x1000, v137
	v_add_co_ci_u32_e64 v150, s1, 0, v150, s1
	v_add_co_u32 v137, s1, s8, v133
	s_delay_alu instid0(VALU_DEP_1) | instskip(SKIP_1) | instid1(VALU_DEP_1)
	v_add_co_ci_u32_e64 v187, s1, s9, v134, s1
	v_add_co_u32 v206, s1, s8, v139
	v_add_co_ci_u32_e64 v207, s1, s9, v140, s1
	v_mul_f64 v[133:134], v[153:154], v[30:31]
	v_mul_f64 v[139:140], v[151:152], v[30:31]
	;; [unrolled: 1-line block ×3, first 2 shown]
	v_add_co_u32 v208, s1, s8, v141
	s_delay_alu instid0(VALU_DEP_1)
	v_add_co_ci_u32_e64 v209, s1, s9, v142, s1
	v_mul_f64 v[141:142], v[161:162], v[18:19]
	v_mul_f64 v[18:19], v[68:69], v[18:19]
	v_fma_f64 v[100:101], v[100:101], v[28:29], -v[175:176]
	v_fma_f64 v[133:134], v[151:152], v[28:29], -v[133:134]
	v_fma_f64 v[139:140], v[153:154], v[28:29], v[139:140]
	v_fma_f64 v[151:152], v[155:156], v[24:25], -v[163:164]
	v_fma_f64 v[153:154], v[157:158], v[24:25], v[165:166]
	v_mul_f64 v[155:156], v[66:67], v[46:47]
	v_mul_f64 v[46:47], v[64:65], v[46:47]
	v_fma_f64 v[28:29], v[102:103], v[28:29], v[30:31]
	v_fma_f64 v[30:31], v[104:105], v[24:25], -v[177:178]
	v_fma_f64 v[24:25], v[106:107], v[24:25], v[26:27]
	v_fma_f64 v[26:27], v[92:93], v[32:33], -v[179:180]
	;; [unrolled: 2-line block ×4, first 2 shown]
	v_fma_f64 v[92:93], v[161:162], v[16:17], v[183:184]
	v_fma_f64 v[16:17], v[70:71], v[16:17], v[18:19]
	v_fma_f64 v[18:19], v[72:73], v[12:13], -v[202:203]
	v_fma_f64 v[12:13], v[74:75], v[12:13], v[14:15]
	v_add_f64 v[94:95], v[36:37], v[56:57]
	v_add_f64 v[36:37], v[36:37], -v[56:57]
	v_add_co_u32 v157, s1, s8, v143
	s_delay_alu instid0(VALU_DEP_1) | instskip(SKIP_1) | instid1(VALU_DEP_1)
	v_add_co_ci_u32_e64 v158, s1, s9, v144, s1
	v_add_co_u32 v159, s1, s8, v145
	v_add_co_ci_u32_e64 v160, s1, s9, v146, s1
	v_add_co_u32 v161, s1, s8, v131
	s_delay_alu instid0(VALU_DEP_1) | instskip(SKIP_1) | instid1(VALU_DEP_1)
	v_add_co_ci_u32_e64 v162, s1, s9, v132, s1
	v_add_co_u32 v84, s1, 0x16a0, v137
	v_add_co_ci_u32_e64 v85, s1, 0, v187, s1
	v_add_co_u32 v102, s1, 0x1000, v137
	v_add_f64 v[14:15], v[133:134], v[116:117]
	v_add_f64 v[68:69], v[139:140], v[118:119]
	;; [unrolled: 1-line block ×4, first 2 shown]
	v_fma_f64 v[50:51], v[64:65], v[44:45], -v[155:156]
	v_fma_f64 v[44:45], v[66:67], v[44:45], v[46:47]
	v_add_f64 v[80:81], v[151:152], -v[108:109]
	v_add_f64 v[82:83], v[153:154], -v[110:111]
	;; [unrolled: 1-line block ×3, first 2 shown]
	v_add_f64 v[64:65], v[30:31], v[26:27]
	v_add_f64 v[66:67], v[24:25], v[32:33]
	;; [unrolled: 1-line block ×6, first 2 shown]
	v_add_f64 v[22:23], v[88:89], -v[22:23]
	v_add_f64 v[86:87], v[90:91], -v[92:93]
	v_add_f64 v[88:89], v[76:77], v[38:39]
	v_add_f64 v[90:91], v[40:41], v[52:53]
	;; [unrolled: 1-line block ×4, first 2 shown]
	v_add_f64 v[26:27], v[30:31], -v[26:27]
	v_add_f64 v[12:13], v[12:13], -v[16:17]
	;; [unrolled: 1-line block ×3, first 2 shown]
	v_add_f64 v[104:105], v[58:59], v[18:19]
	v_add_f64 v[24:25], v[24:25], -v[32:33]
	v_add_f64 v[18:19], v[18:19], -v[58:59]
	;; [unrolled: 1-line block ×7, first 2 shown]
	v_add_co_ci_u32_e64 v103, s1, 0, v187, s1
	v_add_f64 v[16:17], v[70:71], v[14:15]
	v_add_f64 v[30:31], v[72:73], v[68:69]
	;; [unrolled: 1-line block ×4, first 2 shown]
	v_add_f64 v[44:45], v[44:45], -v[48:49]
	v_add_f64 v[50:51], v[50:51], -v[60:61]
	;; [unrolled: 1-line block ×4, first 2 shown]
	v_add_f64 v[48:49], v[64:65], v[46:47]
	v_add_f64 v[52:53], v[66:67], v[62:63]
	v_add_f64 v[14:15], v[14:15], -v[74:75]
	v_add_f64 v[58:59], v[68:69], -v[78:79]
	;; [unrolled: 1-line block ×5, first 2 shown]
	v_add_f64 v[110:111], v[94:95], v[90:91]
	v_add_f64 v[108:109], v[92:93], v[88:89]
	v_add_f64 v[100:101], v[86:87], -v[82:83]
	v_add_f64 v[70:71], v[22:23], v[80:81]
	v_add_f64 v[72:73], v[86:87], v[82:83]
	v_add_f64 v[80:81], v[80:81], -v[96:97]
	v_add_f64 v[82:83], v[82:83], -v[98:99]
	v_add_f64 v[112:113], v[64:65], -v[46:47]
	v_add_f64 v[114:115], v[66:67], -v[62:63]
	v_add_f64 v[46:47], v[46:47], -v[104:105]
	v_add_f64 v[62:63], v[62:63], -v[106:107]
	v_add_f64 v[116:117], v[18:19], v[26:27]
	v_add_f64 v[118:119], v[12:13], v[24:25]
	v_add_f64 v[64:65], v[104:105], -v[64:65]
	v_add_f64 v[66:67], v[106:107], -v[66:67]
	v_add_f64 v[131:132], v[92:93], -v[88:89]
	v_add_f64 v[133:134], v[94:95], -v[90:91]
	v_add_f64 v[22:23], v[96:97], -v[22:23]
	;; [unrolled: 8-line block ×3, first 2 shown]
	v_add_f64 v[90:91], v[90:91], -v[42:43]
	v_add_f64 v[92:93], v[40:41], -v[92:93]
	v_add_f64 v[48:49], v[104:105], v[48:49]
	v_add_f64 v[52:53], v[106:107], v[52:53]
	v_add_f64 v[94:95], v[42:43], -v[94:95]
	v_add_f64 v[104:105], v[50:51], -v[38:39]
	;; [unrolled: 1-line block ×3, first 2 shown]
	v_add_f64 v[139:140], v[50:51], v[38:39]
	v_add_f64 v[141:142], v[44:45], v[36:37]
	;; [unrolled: 1-line block ×4, first 2 shown]
	v_add_f64 v[38:39], v[38:39], -v[28:29]
	v_add_f64 v[36:37], v[36:37], -v[34:35]
	v_mul_f64 v[14:15], v[14:15], s[20:21]
	v_mul_f64 v[58:59], v[58:59], s[20:21]
	;; [unrolled: 1-line block ×6, first 2 shown]
	v_add_f64 v[70:71], v[70:71], v[96:97]
	v_add_f64 v[72:73], v[72:73], v[98:99]
	v_mul_f64 v[96:97], v[80:81], s[10:11]
	v_mul_f64 v[98:99], v[82:83], s[10:11]
	v_add_f64 v[18:19], v[32:33], -v[18:19]
	v_add_f64 v[12:13], v[20:21], -v[12:13]
	v_mul_f64 v[46:47], v[46:47], s[20:21]
	v_mul_f64 v[62:63], v[62:63], s[20:21]
	v_add_f64 v[32:33], v[116:117], v[32:33]
	v_add_f64 v[20:21], v[118:119], v[20:21]
	v_mul_f64 v[143:144], v[64:65], s[4:5]
	v_mul_f64 v[145:146], v[66:67], s[4:5]
	v_add_f64 v[8:9], v[8:9], v[16:17]
	v_add_f64 v[10:11], v[10:11], v[30:31]
	v_mul_f64 v[74:75], v[74:75], s[24:25]
	v_mul_f64 v[78:79], v[78:79], s[24:25]
	;; [unrolled: 1-line block ×4, first 2 shown]
	v_add_f64 v[50:51], v[28:29], -v[50:51]
	v_add_f64 v[44:45], v[34:35], -v[44:45]
	v_mul_f64 v[88:89], v[88:89], s[20:21]
	v_add_f64 v[4:5], v[4:5], v[48:49]
	v_add_f64 v[6:7], v[6:7], v[52:53]
	v_mul_f64 v[90:91], v[90:91], s[20:21]
	v_mul_f64 v[104:105], v[104:105], s[24:25]
	;; [unrolled: 1-line block ×3, first 2 shown]
	v_add_f64 v[28:29], v[139:140], v[28:29]
	v_add_f64 v[34:35], v[141:142], v[34:35]
	;; [unrolled: 1-line block ×4, first 2 shown]
	v_mul_f64 v[151:152], v[38:39], s[10:11]
	v_mul_f64 v[153:154], v[36:37], s[10:11]
	;; [unrolled: 1-line block ×4, first 2 shown]
	v_fma_f64 v[60:61], v[60:61], s[4:5], v[14:15]
	v_fma_f64 v[68:69], v[68:69], s[4:5], v[58:59]
	v_fma_f64 v[108:109], v[54:55], s[18:19], -v[108:109]
	v_fma_f64 v[110:111], v[56:57], s[18:19], -v[110:111]
	;; [unrolled: 1-line block ×4, first 2 shown]
	v_fma_f64 v[56:57], v[22:23], s[22:23], v[76:77]
	v_fma_f64 v[58:59], v[86:87], s[22:23], v[100:101]
	v_fma_f64 v[76:77], v[80:81], s[10:11], -v[76:77]
	v_fma_f64 v[80:81], v[82:83], s[10:11], -v[100:101]
	;; [unrolled: 1-line block ×4, first 2 shown]
	v_fma_f64 v[64:65], v[64:65], s[4:5], v[46:47]
	v_fma_f64 v[66:67], v[66:67], s[4:5], v[62:63]
	v_fma_f64 v[46:47], v[112:113], s[16:17], -v[46:47]
	v_fma_f64 v[62:63], v[114:115], s[16:17], -v[62:63]
	v_fma_f64 v[16:17], v[16:17], s[12:13], v[8:9]
	v_fma_f64 v[30:31], v[30:31], s[12:13], v[10:11]
	;; [unrolled: 1-line block ×4, first 2 shown]
	v_fma_f64 v[18:19], v[18:19], s[26:27], -v[116:117]
	v_fma_f64 v[12:13], v[12:13], s[26:27], -v[118:119]
	;; [unrolled: 1-line block ×5, first 2 shown]
	v_fma_f64 v[48:49], v[48:49], s[12:13], v[4:5]
	v_fma_f64 v[52:53], v[52:53], s[12:13], v[6:7]
	v_fma_f64 v[24:25], v[24:25], s[10:11], -v[78:79]
	v_fma_f64 v[74:75], v[92:93], s[4:5], v[88:89]
	v_fma_f64 v[78:79], v[94:95], s[4:5], v[90:91]
	;; [unrolled: 1-line block ×6, first 2 shown]
	v_fma_f64 v[50:51], v[50:51], s[26:27], -v[151:152]
	v_fma_f64 v[44:45], v[44:45], s[26:27], -v[153:154]
	;; [unrolled: 1-line block ×8, first 2 shown]
	v_add_co_u32 v104, s1, 0x16a0, v206
	v_fma_f64 v[56:57], v[70:71], s[14:15], v[56:57]
	v_fma_f64 v[58:59], v[72:73], s[14:15], v[58:59]
	;; [unrolled: 1-line block ×6, first 2 shown]
	v_add_co_ci_u32_e64 v105, s1, 0, v207, s1
	s_mov_b32 s4, 0xe8584caa
	s_mov_b32 s5, 0x3febb67a
	v_add_f64 v[60:61], v[60:61], v[16:17]
	v_add_f64 v[68:69], v[68:69], v[30:31]
	;; [unrolled: 1-line block ×6, first 2 shown]
	v_fma_f64 v[98:99], v[32:33], s[14:15], v[98:99]
	v_fma_f64 v[100:101], v[20:21], s[14:15], v[100:101]
	;; [unrolled: 1-line block ×3, first 2 shown]
	v_add_f64 v[64:65], v[64:65], v[48:49]
	v_add_f64 v[66:67], v[66:67], v[52:53]
	v_fma_f64 v[118:119], v[20:21], s[14:15], v[12:13]
	v_add_f64 v[131:132], v[46:47], v[48:49]
	v_add_f64 v[62:63], v[62:63], v[52:53]
	v_fma_f64 v[108:109], v[32:33], s[14:15], v[26:27]
	v_fma_f64 v[110:111], v[20:21], s[14:15], v[24:25]
	v_add_f64 v[48:49], v[86:87], v[48:49]
	v_add_f64 v[52:53], v[96:97], v[52:53]
	v_fma_f64 v[86:87], v[28:29], s[14:15], v[112:113]
	;; [unrolled: 4-line block ×4, first 2 shown]
	v_fma_f64 v[114:115], v[34:35], s[14:15], v[36:37]
	v_add_f64 v[74:75], v[92:93], v[40:41]
	v_add_f64 v[90:91], v[94:95], v[42:43]
	v_add_co_u32 v92, s1, 0x1000, v206
	s_delay_alu instid0(VALU_DEP_1) | instskip(SKIP_1) | instid1(VALU_DEP_1)
	v_add_co_ci_u32_e64 v93, s1, 0, v207, s1
	v_add_co_u32 v94, s1, 0x16a0, v208
	v_add_co_ci_u32_e64 v95, s1, 0, v209, s1
	v_add_f64 v[12:13], v[58:59], v[60:61]
	v_add_f64 v[14:15], v[68:69], -v[56:57]
	v_add_f64 v[16:17], v[72:73], v[82:83]
	v_add_f64 v[18:19], v[54:55], -v[70:71]
	v_add_f64 v[20:21], v[106:107], -v[80:81]
	v_add_f64 v[22:23], v[76:77], v[30:31]
	v_add_f64 v[24:25], v[80:81], v[106:107]
	v_add_f64 v[26:27], v[30:31], -v[76:77]
	v_add_f64 v[28:29], v[82:83], -v[72:73]
	v_add_f64 v[30:31], v[70:71], v[54:55]
	v_add_f64 v[32:33], v[60:61], -v[58:59]
	v_add_f64 v[34:35], v[56:57], v[68:69]
	v_add_f64 v[36:37], v[100:101], v[64:65]
	v_add_f64 v[38:39], v[66:67], -v[98:99]
	v_add_f64 v[40:41], v[118:119], v[131:132]
	v_add_f64 v[42:43], v[62:63], -v[116:117]
	v_add_f64 v[44:45], v[48:49], -v[110:111]
	v_add_f64 v[46:47], v[108:109], v[52:53]
	v_add_f64 v[48:49], v[110:111], v[48:49]
	v_add_f64 v[50:51], v[52:53], -v[108:109]
	v_add_f64 v[52:53], v[131:132], -v[118:119]
	v_add_f64 v[54:55], v[116:117], v[62:63]
	v_add_f64 v[56:57], v[64:65], -v[100:101]
	v_add_f64 v[58:59], v[98:99], v[66:67]
	;; [unrolled: 12-line block ×3, first 2 shown]
	v_add_co_u32 v86, s1, 0x1000, v208
	s_delay_alu instid0(VALU_DEP_1) | instskip(SKIP_1) | instid1(VALU_DEP_1)
	v_add_co_ci_u32_e64 v87, s1, 0, v209, s1
	v_add_co_u32 v88, s1, 0x16a0, v157
	v_add_co_ci_u32_e64 v89, s1, 0, v158, s1
	v_add_co_u32 v90, s1, 0x1000, v157
	s_delay_alu instid0(VALU_DEP_1) | instskip(SKIP_1) | instid1(VALU_DEP_1)
	v_add_co_ci_u32_e64 v91, s1, 0, v158, s1
	v_add_co_u32 v96, s1, 0x16a0, v159
	v_add_co_ci_u32_e64 v97, s1, 0, v160, s1
	v_lshl_add_u32 v98, v123, 4, 0
	ds_store_b128 v188, v[8:11]
	ds_store_b128 v188, v[12:15] offset:832
	ds_store_b128 v188, v[16:19] offset:1664
	;; [unrolled: 1-line block ×20, first 2 shown]
	v_add_co_u32 v8, s1, 0x1000, v159
	s_delay_alu instid0(VALU_DEP_1) | instskip(SKIP_1) | instid1(VALU_DEP_1)
	v_add_co_ci_u32_e64 v9, s1, 0, v160, s1
	v_add_co_u32 v55, s1, 0x16a0, v161
	v_add_co_ci_u32_e64 v56, s1, 0, v162, s1
	v_add_co_u32 v51, s1, 0x1000, v161
	s_delay_alu instid0(VALU_DEP_1)
	v_add_co_ci_u32_e64 v52, s1, 0, v162, s1
	s_waitcnt lgkmcnt(0)
	s_barrier
	buffer_gl0_inv
	s_clause 0xd
	global_load_b128 v[0:3], v[149:150], off offset:1696
	global_load_b128 v[4:7], v[147:148], off offset:16
	;; [unrolled: 1-line block ×14, first 2 shown]
	scratch_load_b32 v8, off, off offset:52 ; 4-byte Folded Reload
	s_mov_b32 s11, 0xbfebb67a
	s_mov_b32 s10, s4
	s_waitcnt vmcnt(0)
	v_add_nc_u32_e32 v10, v8, v128
	ds_load_b128 v[59:62], v10
	ds_load_b128 v[63:66], v188 offset:11648
	ds_load_b128 v[67:70], v188 offset:6656
	;; [unrolled: 1-line block ×10, first 2 shown]
	ds_load_b128 v[103:106], v130
	ds_load_b128 v[107:110], v188 offset:10816
	ds_load_b128 v[111:114], v188 offset:15808
	;; [unrolled: 1-line block ×3, first 2 shown]
	scratch_load_b32 v119, off, off offset:48 ; 4-byte Folded Reload
	s_waitcnt lgkmcnt(14)
	v_mul_f64 v[8:9], v[61:62], v[2:3]
	v_mul_f64 v[2:3], v[59:60], v[2:3]
	s_waitcnt lgkmcnt(13)
	v_mul_f64 v[131:132], v[65:66], v[6:7]
	v_mul_f64 v[6:7], v[63:64], v[6:7]
	;; [unrolled: 3-line block ×4, first 2 shown]
	s_waitcnt lgkmcnt(10)
	v_mul_f64 v[141:142], v[77:78], v[21:22]
	s_waitcnt lgkmcnt(9)
	v_mul_f64 v[143:144], v[81:82], v[25:26]
	v_mul_f64 v[21:22], v[75:76], v[21:22]
	;; [unrolled: 1-line block ×3, first 2 shown]
	s_waitcnt lgkmcnt(8)
	v_mul_f64 v[145:146], v[85:86], v[29:30]
	s_waitcnt lgkmcnt(7)
	v_mul_f64 v[147:148], v[89:90], v[33:34]
	v_mul_f64 v[29:30], v[83:84], v[29:30]
	v_mul_f64 v[33:34], v[87:88], v[33:34]
	s_waitcnt lgkmcnt(5)
	v_mul_f64 v[149:150], v[97:98], v[37:38]
	v_mul_f64 v[151:152], v[93:94], v[41:42]
	v_mul_f64 v[37:38], v[95:96], v[37:38]
	v_mul_f64 v[41:42], v[91:92], v[41:42]
	s_waitcnt lgkmcnt(4)
	v_mul_f64 v[153:154], v[101:102], v[45:46]
	s_waitcnt lgkmcnt(1)
	v_mul_f64 v[155:156], v[113:114], v[49:50]
	v_mul_f64 v[45:46], v[99:100], v[45:46]
	;; [unrolled: 1-line block ×4, first 2 shown]
	s_waitcnt lgkmcnt(0)
	v_mul_f64 v[159:160], v[117:118], v[57:58]
	v_mul_f64 v[53:54], v[107:108], v[53:54]
	;; [unrolled: 1-line block ×3, first 2 shown]
	v_fma_f64 v[8:9], v[59:60], v[0:1], -v[8:9]
	v_fma_f64 v[59:60], v[61:62], v[0:1], v[2:3]
	v_fma_f64 v[61:62], v[63:64], v[4:5], -v[131:132]
	v_fma_f64 v[63:64], v[65:66], v[4:5], v[6:7]
	scratch_load_b32 v4, off, off offset:108 ; 4-byte Folded Reload
	v_fma_f64 v[65:66], v[67:68], v[11:12], -v[133:134]
	v_fma_f64 v[67:68], v[69:70], v[11:12], v[13:14]
	v_fma_f64 v[69:70], v[71:72], v[15:16], -v[139:140]
	v_fma_f64 v[71:72], v[73:74], v[15:16], v[17:18]
	v_fma_f64 v[73:74], v[75:76], v[19:20], -v[141:142]
	v_fma_f64 v[75:76], v[79:80], v[23:24], -v[143:144]
	v_fma_f64 v[77:78], v[77:78], v[19:20], v[21:22]
	v_fma_f64 v[79:80], v[81:82], v[23:24], v[25:26]
	v_fma_f64 v[81:82], v[83:84], v[27:28], -v[145:146]
	v_fma_f64 v[83:84], v[87:88], v[31:32], -v[147:148]
	v_fma_f64 v[28:29], v[85:86], v[27:28], v[29:30]
	;; [unrolled: 4-line block ×5, first 2 shown]
	v_fma_f64 v[52:53], v[117:118], v[55:56], v[57:58]
	ds_load_b128 v[0:3], v188
	ds_load_b128 v[16:19], v210
	;; [unrolled: 1-line block ×3, first 2 shown]
	v_add_f64 v[54:55], v[8:9], v[61:62]
	v_add_f64 v[56:57], v[59:60], v[63:64]
	v_add_f64 v[101:102], v[59:60], -v[63:64]
	v_add_f64 v[87:88], v[65:66], v[69:70]
	v_add_f64 v[89:90], v[67:68], v[71:72]
	v_add_f64 v[117:118], v[67:68], -v[71:72]
	v_add_f64 v[91:92], v[73:74], v[75:76]
	s_waitcnt lgkmcnt(2)
	v_add_f64 v[97:98], v[0:1], v[8:9]
	v_add_f64 v[93:94], v[77:78], v[79:80]
	;; [unrolled: 1-line block ×4, first 2 shown]
	v_add_f64 v[8:9], v[8:9], -v[61:62]
	v_add_f64 v[99:100], v[28:29], v[30:31]
	s_waitcnt lgkmcnt(1)
	v_add_f64 v[143:144], v[18:19], v[28:29]
	v_add_f64 v[107:108], v[32:33], v[85:86]
	;; [unrolled: 1-line block ×4, first 2 shown]
	v_add_f64 v[157:158], v[28:29], -v[30:31]
	v_add_f64 v[111:112], v[38:39], v[40:41]
	v_add_f64 v[81:82], v[81:82], -v[83:84]
	v_add_f64 v[115:116], v[42:43], v[44:45]
	v_add_f64 v[153:154], v[103:104], v[46:47]
	v_add_f64 v[159:160], v[34:35], -v[36:37]
	v_add_f64 v[155:156], v[105:106], v[50:51]
	v_add_f64 v[131:132], v[50:51], v[52:53]
	v_add_f64 v[161:162], v[32:33], -v[85:86]
	v_add_f64 v[163:164], v[42:43], -v[44:45]
	;; [unrolled: 1-line block ×5, first 2 shown]
	s_waitcnt lgkmcnt(0)
	v_add_f64 v[133:134], v[12:13], v[73:74]
	v_add_f64 v[139:140], v[14:15], v[77:78]
	v_add_f64 v[77:78], v[77:78], -v[79:80]
	v_add_f64 v[73:74], v[73:74], -v[75:76]
	v_fma_f64 v[54:55], v[54:55], -0.5, v[0:1]
	v_fma_f64 v[56:57], v[56:57], -0.5, v[2:3]
	;; [unrolled: 1-line block ×3, first 2 shown]
	v_add_f64 v[0:1], v[97:98], v[61:62]
	v_fma_f64 v[93:94], v[93:94], -0.5, v[14:15]
	v_add_f64 v[2:3], v[58:59], v[63:64]
	v_fma_f64 v[95:96], v[95:96], -0.5, v[16:17]
	v_fma_f64 v[99:100], v[99:100], -0.5, v[18:19]
	v_add_f64 v[18:19], v[143:144], v[30:31]
	v_add_f64 v[16:17], v[141:142], v[83:84]
	;; [unrolled: 1-line block ×4, first 2 shown]
	v_fma_f64 v[105:106], v[131:132], -0.5, v[105:106]
	v_add_f64 v[12:13], v[133:134], v[75:76]
	v_add_f64 v[14:15], v[139:140], v[79:80]
	v_fma_f64 v[52:53], v[77:78], s[10:11], v[91:92]
	v_fma_f64 v[50:51], v[73:74], s[10:11], v[93:94]
	;; [unrolled: 1-line block ×6, first 2 shown]
	s_waitcnt vmcnt(1)
	ds_load_b128 v[20:23], v119
	s_waitcnt vmcnt(0)
	v_add_nc_u32_e32 v11, v4, v127
	v_add_f64 v[127:128], v[46:47], v[48:49]
	ds_load_b128 v[4:7], v212
	v_fma_f64 v[48:49], v[77:78], s[4:5], v[91:92]
	ds_load_b128 v[24:27], v11
	s_waitcnt lgkmcnt(2)
	v_add_f64 v[147:148], v[22:23], v[34:35]
	v_add_f64 v[145:146], v[20:21], v[32:33]
	v_fma_f64 v[107:108], v[107:108], -0.5, v[20:21]
	v_fma_f64 v[109:110], v[109:110], -0.5, v[22:23]
	v_fma_f64 v[32:33], v[101:102], s[4:5], v[54:55]
	v_fma_f64 v[34:35], v[8:9], s[10:11], v[56:57]
	s_waitcnt lgkmcnt(0)
	s_barrier
	buffer_gl0_inv
	v_add_f64 v[113:114], v[4:5], v[65:66]
	v_add_f64 v[67:68], v[6:7], v[67:68]
	v_add_f64 v[65:66], v[65:66], -v[69:70]
	v_add_f64 v[149:150], v[24:25], v[38:39]
	v_fma_f64 v[87:88], v[87:88], -0.5, v[4:5]
	v_fma_f64 v[89:90], v[89:90], -0.5, v[6:7]
	v_add_f64 v[151:152], v[26:27], v[42:43]
	v_fma_f64 v[111:112], v[111:112], -0.5, v[24:25]
	v_fma_f64 v[97:98], v[115:116], -0.5, v[26:27]
	v_fma_f64 v[38:39], v[8:9], s[4:5], v[56:57]
	v_fma_f64 v[56:57], v[157:158], s[4:5], v[95:96]
                                        ; implicit-def: $vgpr8_vgpr9
	v_fma_f64 v[103:104], v[127:128], -0.5, v[103:104]
	v_add_f64 v[22:23], v[147:148], v[36:37]
	v_fma_f64 v[36:37], v[101:102], s[10:11], v[54:55]
	v_fma_f64 v[54:55], v[73:74], s[4:5], v[93:94]
	v_add_f64 v[20:21], v[145:146], v[85:86]
	v_add_f64 v[4:5], v[113:114], v[69:70]
	;; [unrolled: 1-line block ×3, first 2 shown]
	v_fma_f64 v[68:69], v[159:160], s[10:11], v[107:108]
	v_add_f64 v[24:25], v[149:150], v[40:41]
	v_fma_f64 v[40:41], v[117:118], s[4:5], v[87:88]
	v_fma_f64 v[42:43], v[65:66], s[10:11], v[89:90]
	v_add_f64 v[26:27], v[151:152], v[44:45]
	v_fma_f64 v[44:45], v[117:118], s[10:11], v[87:88]
	v_fma_f64 v[46:47], v[65:66], s[4:5], v[89:90]
	;; [unrolled: 1-line block ×12, first 2 shown]
	ds_store_b128 v188, v[0:3]
	ds_store_b128 v188, v[32:35] offset:5824
	ds_store_b128 v188, v[36:39] offset:11648
	ds_store_b128 v212, v[4:7]
	ds_store_b128 v212, v[40:43] offset:5824
	ds_store_b128 v212, v[44:47] offset:11648
	;; [unrolled: 3-line block ×7, first 2 shown]
	s_waitcnt lgkmcnt(0)
	s_barrier
	buffer_gl0_inv
	ds_load_b128 v[4:7], v188
	v_lshlrev_b32_e32 v0, 4, v122
	s_add_u32 s4, s8, 0x4420
	s_addc_u32 s5, s9, 0
	s_mov_b32 s8, exec_lo
                                        ; implicit-def: $vgpr2_vgpr3
	s_delay_alu instid0(VALU_DEP_1)
	v_sub_nc_u32_e32 v12, 0, v0
	v_cmpx_ne_u32_e32 0, v122
	s_xor_b32 s8, exec_lo, s8
	s_cbranch_execz .LBB0_25
; %bb.24:
	v_mov_b32_e32 v123, v138
	s_delay_alu instid0(VALU_DEP_1) | instskip(NEXT) | instid1(VALU_DEP_1)
	v_lshlrev_b64 v[0:1], 4, v[122:123]
	v_add_co_u32 v0, s1, s4, v0
	s_delay_alu instid0(VALU_DEP_1)
	v_add_co_ci_u32_e64 v1, s1, s5, v1, s1
	global_load_b128 v[13:16], v[0:1], off
	ds_load_b128 v[0:3], v12 offset:17472
	s_waitcnt lgkmcnt(0)
	v_add_f64 v[8:9], v[4:5], -v[0:1]
	v_add_f64 v[17:18], v[6:7], v[2:3]
	v_add_f64 v[2:3], v[6:7], -v[2:3]
	v_add_f64 v[0:1], v[4:5], v[0:1]
	s_delay_alu instid0(VALU_DEP_4) | instskip(NEXT) | instid1(VALU_DEP_4)
	v_mul_f64 v[6:7], v[8:9], 0.5
	v_mul_f64 v[4:5], v[17:18], 0.5
	s_delay_alu instid0(VALU_DEP_4) | instskip(SKIP_1) | instid1(VALU_DEP_3)
	v_mul_f64 v[2:3], v[2:3], 0.5
	s_waitcnt vmcnt(0)
	v_mul_f64 v[8:9], v[6:7], v[15:16]
	s_delay_alu instid0(VALU_DEP_2) | instskip(SKIP_1) | instid1(VALU_DEP_3)
	v_fma_f64 v[17:18], v[4:5], v[15:16], v[2:3]
	v_fma_f64 v[2:3], v[4:5], v[15:16], -v[2:3]
	v_fma_f64 v[19:20], v[0:1], 0.5, v[8:9]
	v_fma_f64 v[0:1], v[0:1], 0.5, -v[8:9]
	s_delay_alu instid0(VALU_DEP_4) | instskip(NEXT) | instid1(VALU_DEP_4)
	v_fma_f64 v[8:9], -v[13:14], v[6:7], v[17:18]
	v_fma_f64 v[2:3], -v[13:14], v[6:7], v[2:3]
	s_delay_alu instid0(VALU_DEP_4) | instskip(NEXT) | instid1(VALU_DEP_4)
	v_fma_f64 v[15:16], v[4:5], v[13:14], v[19:20]
	v_fma_f64 v[0:1], -v[4:5], v[13:14], v[0:1]
                                        ; implicit-def: $vgpr4_vgpr5
	ds_store_b64 v188, v[15:16]
.LBB0_25:
	s_or_saveexec_b32 s1, s8
	v_lshlrev_b32_e32 v13, 4, v189
	s_delay_alu instid0(VALU_DEP_1)
	v_sub_nc_u32_e32 v13, 0, v13
	s_xor_b32 exec_lo, exec_lo, s1
	s_cbranch_execz .LBB0_27
; %bb.26:
	s_waitcnt lgkmcnt(0)
	v_add_f64 v[14:15], v[4:5], v[6:7]
	v_add_f64 v[0:1], v[4:5], -v[6:7]
	v_mov_b32_e32 v6, 0
	v_mov_b32_e32 v8, 0
	;; [unrolled: 1-line block ×3, first 2 shown]
	s_delay_alu instid0(VALU_DEP_2)
	v_mov_b32_e32 v2, v8
	ds_load_b64 v[4:5], v6 offset:8744
	v_mov_b32_e32 v3, v9
	s_waitcnt lgkmcnt(0)
	v_xor_b32_e32 v5, 0x80000000, v5
	ds_store_b64 v188, v[14:15]
	ds_store_b64 v6, v[4:5] offset:8744
.LBB0_27:
	s_or_b32 exec_lo, exec_lo, s1
	v_mov_b32_e32 v127, 0
	s_delay_alu instid0(VALU_DEP_1) | instskip(SKIP_3) | instid1(VALU_DEP_3)
	v_mov_b32_e32 v137, v127
	s_waitcnt lgkmcnt(0)
	v_lshlrev_b64 v[4:5], 4, v[126:127]
	v_mov_b32_e32 v190, v127
	v_lshlrev_b64 v[14:15], 4, v[136:137]
	v_mov_b32_e32 v136, v127
	s_delay_alu instid0(VALU_DEP_4) | instskip(NEXT) | instid1(VALU_DEP_1)
	v_add_co_u32 v4, s1, s4, v4
	v_add_co_ci_u32_e64 v5, s1, s5, v5, s1
	s_delay_alu instid0(VALU_DEP_4) | instskip(NEXT) | instid1(VALU_DEP_1)
	v_add_co_u32 v14, s1, s4, v14
	v_add_co_ci_u32_e64 v15, s1, s5, v15, s1
	s_clause 0x1
	global_load_b128 v[4:7], v[4:5], off
	global_load_b128 v[14:17], v[14:15], off
	ds_store_b64 v188, v[8:9] offset:8
	ds_store_b128 v12, v[0:3] offset:17472
	scratch_load_b32 v26, off, off offset:104 ; 4-byte Folded Reload
	s_waitcnt vmcnt(0)
	ds_load_b128 v[0:3], v26
	ds_load_b128 v[18:21], v12 offset:16640
	s_waitcnt lgkmcnt(0)
	v_add_f64 v[8:9], v[0:1], -v[18:19]
	v_add_f64 v[22:23], v[2:3], v[20:21]
	v_add_f64 v[2:3], v[2:3], -v[20:21]
	v_add_f64 v[0:1], v[0:1], v[18:19]
	s_delay_alu instid0(VALU_DEP_4) | instskip(NEXT) | instid1(VALU_DEP_4)
	v_mul_f64 v[8:9], v[8:9], 0.5
	v_mul_f64 v[20:21], v[22:23], 0.5
	s_delay_alu instid0(VALU_DEP_4) | instskip(NEXT) | instid1(VALU_DEP_3)
	v_mul_f64 v[2:3], v[2:3], 0.5
	v_mul_f64 v[18:19], v[8:9], v[6:7]
	s_delay_alu instid0(VALU_DEP_2) | instskip(SKIP_1) | instid1(VALU_DEP_3)
	v_fma_f64 v[22:23], v[20:21], v[6:7], v[2:3]
	v_fma_f64 v[6:7], v[20:21], v[6:7], -v[2:3]
	v_fma_f64 v[24:25], v[0:1], 0.5, v[18:19]
	v_fma_f64 v[18:19], v[0:1], 0.5, -v[18:19]
	s_delay_alu instid0(VALU_DEP_4) | instskip(NEXT) | instid1(VALU_DEP_4)
	v_fma_f64 v[2:3], -v[4:5], v[8:9], v[22:23]
	v_fma_f64 v[6:7], -v[4:5], v[8:9], v[6:7]
	v_lshlrev_b64 v[8:9], 4, v[135:136]
	s_delay_alu instid0(VALU_DEP_1) | instskip(NEXT) | instid1(VALU_DEP_1)
	v_add_co_u32 v8, s1, s4, v8
	v_add_co_ci_u32_e64 v9, s1, s5, v9, s1
	v_fma_f64 v[0:1], v[20:21], v[4:5], v[24:25]
	v_fma_f64 v[4:5], -v[20:21], v[4:5], v[18:19]
	global_load_b128 v[18:21], v[8:9], off
	ds_store_b128 v26, v[0:3]
	ds_store_b128 v12, v[4:7] offset:16640
	scratch_load_b32 v26, off, off offset:100 ; 4-byte Folded Reload
	s_waitcnt vmcnt(0)
	ds_load_b128 v[0:3], v26
	ds_load_b128 v[4:7], v12 offset:15808
	s_waitcnt lgkmcnt(0)
	v_add_f64 v[8:9], v[0:1], -v[4:5]
	v_add_f64 v[22:23], v[2:3], v[6:7]
	v_add_f64 v[2:3], v[2:3], -v[6:7]
	v_add_f64 v[0:1], v[0:1], v[4:5]
	s_delay_alu instid0(VALU_DEP_4) | instskip(NEXT) | instid1(VALU_DEP_4)
	v_mul_f64 v[6:7], v[8:9], 0.5
	v_mul_f64 v[8:9], v[22:23], 0.5
	s_delay_alu instid0(VALU_DEP_4) | instskip(NEXT) | instid1(VALU_DEP_3)
	v_mul_f64 v[2:3], v[2:3], 0.5
	v_mul_f64 v[4:5], v[6:7], v[16:17]
	s_delay_alu instid0(VALU_DEP_2) | instskip(SKIP_1) | instid1(VALU_DEP_3)
	v_fma_f64 v[22:23], v[8:9], v[16:17], v[2:3]
	v_fma_f64 v[16:17], v[8:9], v[16:17], -v[2:3]
	v_fma_f64 v[24:25], v[0:1], 0.5, v[4:5]
	v_fma_f64 v[4:5], v[0:1], 0.5, -v[4:5]
	s_delay_alu instid0(VALU_DEP_4) | instskip(NEXT) | instid1(VALU_DEP_4)
	v_fma_f64 v[2:3], -v[14:15], v[6:7], v[22:23]
	v_fma_f64 v[6:7], -v[14:15], v[6:7], v[16:17]
	s_delay_alu instid0(VALU_DEP_4) | instskip(NEXT) | instid1(VALU_DEP_4)
	v_fma_f64 v[0:1], v[8:9], v[14:15], v[24:25]
	v_fma_f64 v[4:5], -v[8:9], v[14:15], v[4:5]
	scratch_load_b64 v[8:9], off, off offset:32 ; 8-byte Folded Reload
	s_waitcnt vmcnt(0)
	v_mov_b32_e32 v9, v127
	s_delay_alu instid0(VALU_DEP_1) | instskip(NEXT) | instid1(VALU_DEP_1)
	v_lshlrev_b64 v[8:9], 4, v[8:9]
	v_add_co_u32 v8, s1, s4, v8
	s_delay_alu instid0(VALU_DEP_1)
	v_add_co_ci_u32_e64 v9, s1, s5, v9, s1
	global_load_b128 v[14:17], v[8:9], off
	ds_store_b128 v26, v[0:3]
	ds_store_b128 v12, v[4:7] offset:15808
	scratch_load_b32 v26, off, off offset:96 ; 4-byte Folded Reload
	s_waitcnt vmcnt(0)
	ds_load_b128 v[0:3], v26
	ds_load_b128 v[4:7], v12 offset:14976
	s_waitcnt lgkmcnt(0)
	v_add_f64 v[8:9], v[0:1], -v[4:5]
	v_add_f64 v[22:23], v[2:3], v[6:7]
	v_add_f64 v[2:3], v[2:3], -v[6:7]
	v_add_f64 v[0:1], v[0:1], v[4:5]
	s_delay_alu instid0(VALU_DEP_4) | instskip(NEXT) | instid1(VALU_DEP_4)
	v_mul_f64 v[6:7], v[8:9], 0.5
	v_mul_f64 v[8:9], v[22:23], 0.5
	s_delay_alu instid0(VALU_DEP_4) | instskip(NEXT) | instid1(VALU_DEP_3)
	v_mul_f64 v[2:3], v[2:3], 0.5
	v_mul_f64 v[4:5], v[6:7], v[20:21]
	s_delay_alu instid0(VALU_DEP_2) | instskip(SKIP_1) | instid1(VALU_DEP_3)
	v_fma_f64 v[22:23], v[8:9], v[20:21], v[2:3]
	v_fma_f64 v[20:21], v[8:9], v[20:21], -v[2:3]
	v_fma_f64 v[24:25], v[0:1], 0.5, v[4:5]
	v_fma_f64 v[4:5], v[0:1], 0.5, -v[4:5]
	s_delay_alu instid0(VALU_DEP_4) | instskip(NEXT) | instid1(VALU_DEP_4)
	v_fma_f64 v[2:3], -v[18:19], v[6:7], v[22:23]
	v_fma_f64 v[6:7], -v[18:19], v[6:7], v[20:21]
	s_delay_alu instid0(VALU_DEP_4) | instskip(NEXT) | instid1(VALU_DEP_4)
	v_fma_f64 v[0:1], v[8:9], v[18:19], v[24:25]
	v_fma_f64 v[4:5], -v[8:9], v[18:19], v[4:5]
	scratch_load_b64 v[8:9], off, off offset:24 ; 8-byte Folded Reload
	s_waitcnt vmcnt(0)
	v_mov_b32_e32 v9, v127
	s_delay_alu instid0(VALU_DEP_1) | instskip(NEXT) | instid1(VALU_DEP_1)
	v_lshlrev_b64 v[8:9], 4, v[8:9]
	v_add_co_u32 v8, s1, s4, v8
	s_delay_alu instid0(VALU_DEP_1)
	v_add_co_ci_u32_e64 v9, s1, s5, v9, s1
	;; [unrolled: 37-line block ×3, first 2 shown]
	global_load_b128 v[14:17], v[8:9], off
	ds_store_b128 v26, v[0:3]
	ds_store_b128 v12, v[4:7] offset:14144
	ds_load_b128 v[0:3], v11
	ds_load_b128 v[4:7], v12 offset:13312
	s_waitcnt lgkmcnt(0)
	v_add_f64 v[8:9], v[0:1], -v[4:5]
	v_add_f64 v[22:23], v[2:3], v[6:7]
	v_add_f64 v[2:3], v[2:3], -v[6:7]
	v_add_f64 v[0:1], v[0:1], v[4:5]
	s_delay_alu instid0(VALU_DEP_4) | instskip(NEXT) | instid1(VALU_DEP_4)
	v_mul_f64 v[6:7], v[8:9], 0.5
	v_mul_f64 v[8:9], v[22:23], 0.5
	s_delay_alu instid0(VALU_DEP_4) | instskip(NEXT) | instid1(VALU_DEP_3)
	v_mul_f64 v[2:3], v[2:3], 0.5
	v_mul_f64 v[4:5], v[6:7], v[20:21]
	s_delay_alu instid0(VALU_DEP_2) | instskip(SKIP_1) | instid1(VALU_DEP_3)
	v_fma_f64 v[22:23], v[8:9], v[20:21], v[2:3]
	v_fma_f64 v[20:21], v[8:9], v[20:21], -v[2:3]
	v_fma_f64 v[24:25], v[0:1], 0.5, v[4:5]
	v_fma_f64 v[4:5], v[0:1], 0.5, -v[4:5]
	s_delay_alu instid0(VALU_DEP_4) | instskip(NEXT) | instid1(VALU_DEP_4)
	v_fma_f64 v[2:3], -v[18:19], v[6:7], v[22:23]
	v_fma_f64 v[6:7], -v[18:19], v[6:7], v[20:21]
	s_delay_alu instid0(VALU_DEP_4) | instskip(NEXT) | instid1(VALU_DEP_4)
	v_fma_f64 v[0:1], v[8:9], v[18:19], v[24:25]
	v_fma_f64 v[4:5], -v[8:9], v[18:19], v[4:5]
	scratch_load_b64 v[8:9], off, off offset:8 ; 8-byte Folded Reload
	s_waitcnt vmcnt(0)
	v_mov_b32_e32 v9, v127
	s_delay_alu instid0(VALU_DEP_1) | instskip(NEXT) | instid1(VALU_DEP_1)
	v_lshlrev_b64 v[8:9], 4, v[8:9]
	v_add_co_u32 v8, s1, s4, v8
	s_delay_alu instid0(VALU_DEP_1)
	v_add_co_ci_u32_e64 v9, s1, s5, v9, s1
	global_load_b128 v[18:21], v[8:9], off
	ds_store_b128 v11, v[0:3]
	ds_store_b128 v12, v[4:7] offset:13312
	ds_load_b128 v[0:3], v130
	ds_load_b128 v[4:7], v12 offset:12480
	s_waitcnt lgkmcnt(0)
	v_add_f64 v[8:9], v[0:1], -v[4:5]
	v_add_f64 v[22:23], v[2:3], v[6:7]
	v_add_f64 v[2:3], v[2:3], -v[6:7]
	v_add_f64 v[0:1], v[0:1], v[4:5]
	s_delay_alu instid0(VALU_DEP_4) | instskip(NEXT) | instid1(VALU_DEP_4)
	v_mul_f64 v[6:7], v[8:9], 0.5
	v_mul_f64 v[8:9], v[22:23], 0.5
	s_delay_alu instid0(VALU_DEP_4) | instskip(NEXT) | instid1(VALU_DEP_3)
	v_mul_f64 v[2:3], v[2:3], 0.5
	v_mul_f64 v[4:5], v[6:7], v[16:17]
	s_delay_alu instid0(VALU_DEP_2) | instskip(SKIP_1) | instid1(VALU_DEP_3)
	v_fma_f64 v[22:23], v[8:9], v[16:17], v[2:3]
	v_fma_f64 v[16:17], v[8:9], v[16:17], -v[2:3]
	v_fma_f64 v[24:25], v[0:1], 0.5, v[4:5]
	v_fma_f64 v[4:5], v[0:1], 0.5, -v[4:5]
	s_delay_alu instid0(VALU_DEP_4) | instskip(NEXT) | instid1(VALU_DEP_4)
	v_fma_f64 v[2:3], -v[14:15], v[6:7], v[22:23]
	v_fma_f64 v[6:7], -v[14:15], v[6:7], v[16:17]
	s_delay_alu instid0(VALU_DEP_4) | instskip(NEXT) | instid1(VALU_DEP_4)
	v_fma_f64 v[0:1], v[8:9], v[14:15], v[24:25]
	v_fma_f64 v[4:5], -v[8:9], v[14:15], v[4:5]
	v_lshlrev_b64 v[8:9], 4, v[189:190]
	s_delay_alu instid0(VALU_DEP_1) | instskip(NEXT) | instid1(VALU_DEP_1)
	v_add_co_u32 v8, s1, s4, v8
	v_add_co_ci_u32_e64 v9, s1, s5, v9, s1
	global_load_b128 v[14:17], v[8:9], off
	ds_store_b128 v130, v[0:3]
	ds_store_b128 v12, v[4:7] offset:12480
	ds_load_b128 v[0:3], v10
	ds_load_b128 v[4:7], v12 offset:11648
	s_waitcnt lgkmcnt(0)
	v_add_f64 v[8:9], v[0:1], -v[4:5]
	v_add_f64 v[22:23], v[2:3], v[6:7]
	v_add_f64 v[2:3], v[2:3], -v[6:7]
	v_add_f64 v[0:1], v[0:1], v[4:5]
	s_delay_alu instid0(VALU_DEP_4) | instskip(NEXT) | instid1(VALU_DEP_4)
	v_mul_f64 v[6:7], v[8:9], 0.5
	v_mul_f64 v[8:9], v[22:23], 0.5
	s_delay_alu instid0(VALU_DEP_4) | instskip(SKIP_1) | instid1(VALU_DEP_3)
	v_mul_f64 v[2:3], v[2:3], 0.5
	s_waitcnt vmcnt(1)
	v_mul_f64 v[4:5], v[6:7], v[20:21]
	s_delay_alu instid0(VALU_DEP_2) | instskip(SKIP_1) | instid1(VALU_DEP_3)
	v_fma_f64 v[22:23], v[8:9], v[20:21], v[2:3]
	v_fma_f64 v[20:21], v[8:9], v[20:21], -v[2:3]
	v_fma_f64 v[24:25], v[0:1], 0.5, v[4:5]
	v_fma_f64 v[4:5], v[0:1], 0.5, -v[4:5]
	s_delay_alu instid0(VALU_DEP_4) | instskip(NEXT) | instid1(VALU_DEP_4)
	v_fma_f64 v[2:3], -v[18:19], v[6:7], v[22:23]
	v_fma_f64 v[6:7], -v[18:19], v[6:7], v[20:21]
	s_delay_alu instid0(VALU_DEP_4) | instskip(NEXT) | instid1(VALU_DEP_4)
	v_fma_f64 v[0:1], v[8:9], v[18:19], v[24:25]
	v_fma_f64 v[4:5], -v[8:9], v[18:19], v[4:5]
	scratch_load_b64 v[8:9], off, off       ; 8-byte Folded Reload
	s_waitcnt vmcnt(0)
	v_mov_b32_e32 v9, v127
	s_delay_alu instid0(VALU_DEP_1) | instskip(NEXT) | instid1(VALU_DEP_1)
	v_lshlrev_b64 v[8:9], 4, v[8:9]
	v_add_co_u32 v8, s1, s4, v8
	s_delay_alu instid0(VALU_DEP_1)
	v_add_co_ci_u32_e64 v9, s1, s5, v9, s1
	global_load_b128 v[18:21], v[8:9], off
	scratch_load_b32 v8, off, off offset:92 ; 4-byte Folded Reload
	ds_store_b128 v10, v[0:3]
	ds_store_b128 v12, v[4:7] offset:11648
	s_waitcnt vmcnt(0)
	v_add_nc_u32_e32 v13, v8, v13
	ds_load_b128 v[0:3], v13
	ds_load_b128 v[4:7], v12 offset:10816
	s_waitcnt lgkmcnt(0)
	v_add_f64 v[8:9], v[0:1], -v[4:5]
	v_add_f64 v[10:11], v[2:3], v[6:7]
	v_add_f64 v[2:3], v[2:3], -v[6:7]
	v_add_f64 v[0:1], v[0:1], v[4:5]
	s_delay_alu instid0(VALU_DEP_4) | instskip(NEXT) | instid1(VALU_DEP_4)
	v_mul_f64 v[6:7], v[8:9], 0.5
	v_mul_f64 v[8:9], v[10:11], 0.5
	s_delay_alu instid0(VALU_DEP_4) | instskip(NEXT) | instid1(VALU_DEP_3)
	v_mul_f64 v[2:3], v[2:3], 0.5
	v_mul_f64 v[4:5], v[6:7], v[16:17]
	s_delay_alu instid0(VALU_DEP_2) | instskip(SKIP_1) | instid1(VALU_DEP_3)
	v_fma_f64 v[10:11], v[8:9], v[16:17], v[2:3]
	v_fma_f64 v[16:17], v[8:9], v[16:17], -v[2:3]
	v_fma_f64 v[22:23], v[0:1], 0.5, v[4:5]
	v_fma_f64 v[4:5], v[0:1], 0.5, -v[4:5]
	s_delay_alu instid0(VALU_DEP_4) | instskip(NEXT) | instid1(VALU_DEP_4)
	v_fma_f64 v[2:3], -v[14:15], v[6:7], v[10:11]
	v_fma_f64 v[6:7], -v[14:15], v[6:7], v[16:17]
	s_delay_alu instid0(VALU_DEP_4) | instskip(NEXT) | instid1(VALU_DEP_4)
	v_fma_f64 v[0:1], v[8:9], v[14:15], v[22:23]
	v_fma_f64 v[4:5], -v[8:9], v[14:15], v[4:5]
	ds_store_b128 v13, v[0:3]
	ds_store_b128 v12, v[4:7] offset:10816
	ds_load_b128 v[0:3], v129
	ds_load_b128 v[4:7], v12 offset:9984
	s_waitcnt lgkmcnt(0)
	v_add_f64 v[8:9], v[0:1], -v[4:5]
	v_add_f64 v[10:11], v[2:3], v[6:7]
	v_add_f64 v[2:3], v[2:3], -v[6:7]
	v_add_f64 v[0:1], v[0:1], v[4:5]
	s_delay_alu instid0(VALU_DEP_4) | instskip(NEXT) | instid1(VALU_DEP_4)
	v_mul_f64 v[6:7], v[8:9], 0.5
	v_mul_f64 v[8:9], v[10:11], 0.5
	s_delay_alu instid0(VALU_DEP_4) | instskip(NEXT) | instid1(VALU_DEP_3)
	v_mul_f64 v[2:3], v[2:3], 0.5
	v_mul_f64 v[4:5], v[6:7], v[20:21]
	s_delay_alu instid0(VALU_DEP_2) | instskip(SKIP_1) | instid1(VALU_DEP_3)
	v_fma_f64 v[10:11], v[8:9], v[20:21], v[2:3]
	v_fma_f64 v[13:14], v[8:9], v[20:21], -v[2:3]
	v_fma_f64 v[15:16], v[0:1], 0.5, v[4:5]
	v_fma_f64 v[4:5], v[0:1], 0.5, -v[4:5]
	s_delay_alu instid0(VALU_DEP_4) | instskip(NEXT) | instid1(VALU_DEP_4)
	v_fma_f64 v[2:3], -v[18:19], v[6:7], v[10:11]
	v_fma_f64 v[6:7], -v[18:19], v[6:7], v[13:14]
	s_delay_alu instid0(VALU_DEP_4) | instskip(NEXT) | instid1(VALU_DEP_4)
	v_fma_f64 v[0:1], v[8:9], v[18:19], v[15:16]
	v_fma_f64 v[4:5], -v[8:9], v[18:19], v[4:5]
	ds_store_b128 v129, v[0:3]
	ds_store_b128 v12, v[4:7] offset:9984
	s_and_saveexec_b32 s1, s0
	s_cbranch_execz .LBB0_29
; %bb.28:
	scratch_load_b64 v[0:1], off, off offset:40 ; 8-byte Folded Reload
	s_waitcnt vmcnt(0)
	v_mov_b32_e32 v126, v0
	s_delay_alu instid0(VALU_DEP_1) | instskip(NEXT) | instid1(VALU_DEP_1)
	v_lshlrev_b64 v[0:1], 4, v[126:127]
	v_add_co_u32 v0, s0, s4, v0
	s_delay_alu instid0(VALU_DEP_1)
	v_add_co_ci_u32_e64 v1, s0, s5, v1, s0
	global_load_b128 v[0:3], v[0:1], off
	scratch_load_b32 v19, off, off offset:88 ; 4-byte Folded Reload
	s_waitcnt vmcnt(0)
	ds_load_b128 v[4:7], v19
	ds_load_b128 v[8:11], v12 offset:9152
	s_waitcnt lgkmcnt(0)
	v_add_f64 v[13:14], v[4:5], -v[8:9]
	v_add_f64 v[15:16], v[6:7], v[10:11]
	v_add_f64 v[6:7], v[6:7], -v[10:11]
	v_add_f64 v[4:5], v[4:5], v[8:9]
	s_delay_alu instid0(VALU_DEP_4) | instskip(NEXT) | instid1(VALU_DEP_4)
	v_mul_f64 v[10:11], v[13:14], 0.5
	v_mul_f64 v[13:14], v[15:16], 0.5
	s_delay_alu instid0(VALU_DEP_4) | instskip(NEXT) | instid1(VALU_DEP_3)
	v_mul_f64 v[6:7], v[6:7], 0.5
	v_mul_f64 v[8:9], v[10:11], v[2:3]
	s_delay_alu instid0(VALU_DEP_2) | instskip(SKIP_1) | instid1(VALU_DEP_3)
	v_fma_f64 v[15:16], v[13:14], v[2:3], v[6:7]
	v_fma_f64 v[2:3], v[13:14], v[2:3], -v[6:7]
	v_fma_f64 v[6:7], v[4:5], 0.5, v[8:9]
	v_fma_f64 v[17:18], v[4:5], 0.5, -v[8:9]
	s_delay_alu instid0(VALU_DEP_4) | instskip(NEXT) | instid1(VALU_DEP_4)
	v_fma_f64 v[4:5], -v[0:1], v[10:11], v[15:16]
	v_fma_f64 v[8:9], -v[0:1], v[10:11], v[2:3]
	s_delay_alu instid0(VALU_DEP_4) | instskip(NEXT) | instid1(VALU_DEP_4)
	v_fma_f64 v[2:3], v[13:14], v[0:1], v[6:7]
	v_fma_f64 v[6:7], -v[13:14], v[0:1], v[17:18]
	ds_store_b128 v19, v[2:5]
	ds_store_b128 v12, v[6:9] offset:9152
.LBB0_29:
	s_or_b32 exec_lo, exec_lo, s1
	s_waitcnt lgkmcnt(0)
	s_barrier
	buffer_gl0_inv
	s_and_saveexec_b32 s0, vcc_lo
	s_cbranch_execz .LBB0_32
; %bb.30:
	v_mul_lo_u32 v2, s3, v124
	v_mul_lo_u32 v3, s2, v125
	v_mad_u64_u32 v[0:1], null, s2, v124, 0
	v_dual_mov_b32 v123, 0 :: v_dual_add_nc_u32 v12, 52, v122
	v_lshlrev_b64 v[10:11], 4, v[120:121]
	v_lshl_add_u32 v31, v122, 4, 0
	s_delay_alu instid0(VALU_DEP_3)
	v_dual_mov_b32 v13, v123 :: v_dual_add_nc_u32 v14, 0x68, v122
	v_add3_u32 v1, v1, v3, v2
	v_lshlrev_b64 v[16:17], 4, v[122:123]
	v_dual_mov_b32 v15, v123 :: v_dual_add_nc_u32 v24, 0x9c, v122
	ds_load_b128 v[2:5], v31
	ds_load_b128 v[6:9], v31 offset:832
	v_lshlrev_b64 v[0:1], 4, v[0:1]
	v_lshlrev_b64 v[18:19], 4, v[12:13]
	;; [unrolled: 1-line block ×3, first 2 shown]
	v_dual_mov_b32 v25, v123 :: v_dual_add_nc_u32 v26, 0xd0, v122
	v_mov_b32_e32 v27, v123
	v_add_co_u32 v0, vcc_lo, s6, v0
	v_add_co_ci_u32_e32 v1, vcc_lo, s7, v1, vcc_lo
	s_delay_alu instid0(VALU_DEP_4) | instskip(NEXT) | instid1(VALU_DEP_3)
	v_lshlrev_b64 v[24:25], 4, v[24:25]
	v_add_co_u32 v0, vcc_lo, v0, v10
	s_delay_alu instid0(VALU_DEP_3) | instskip(SKIP_1) | instid1(VALU_DEP_3)
	v_add_co_ci_u32_e32 v1, vcc_lo, v1, v11, vcc_lo
	v_add_nc_u32_e32 v30, 0x410, v122
	v_add_co_u32 v22, vcc_lo, v0, v16
	s_delay_alu instid0(VALU_DEP_3)
	v_add_co_ci_u32_e32 v23, vcc_lo, v1, v17, vcc_lo
	ds_load_b128 v[10:13], v31 offset:1664
	ds_load_b128 v[14:17], v31 offset:2496
	v_add_co_u32 v18, vcc_lo, v0, v18
	v_add_co_ci_u32_e32 v19, vcc_lo, v1, v19, vcc_lo
	v_add_co_u32 v20, vcc_lo, v0, v20
	v_add_co_ci_u32_e32 v21, vcc_lo, v1, v21, vcc_lo
	;; [unrolled: 2-line block ×3, first 2 shown]
	s_waitcnt lgkmcnt(3)
	global_store_b128 v[22:23], v[2:5], off
	s_waitcnt lgkmcnt(2)
	global_store_b128 v[18:19], v[6:9], off
	;; [unrolled: 2-line block ×4, first 2 shown]
	v_add_nc_u32_e32 v10, 0x104, v122
	v_lshlrev_b64 v[2:3], 4, v[26:27]
	v_dual_mov_b32 v11, v123 :: v_dual_add_nc_u32 v12, 0x138, v122
	v_dual_mov_b32 v13, v123 :: v_dual_add_nc_u32 v24, 0x16c, v122
	;; [unrolled: 1-line block ×3, first 2 shown]
	s_delay_alu instid0(VALU_DEP_4)
	v_add_co_u32 v18, vcc_lo, v0, v2
	v_add_co_ci_u32_e32 v19, vcc_lo, v1, v3, vcc_lo
	ds_load_b128 v[2:5], v31 offset:3328
	ds_load_b128 v[6:9], v31 offset:4160
	v_lshlrev_b64 v[20:21], 4, v[10:11]
	v_lshlrev_b64 v[22:23], 4, v[12:13]
	ds_load_b128 v[10:13], v31 offset:4992
	ds_load_b128 v[14:17], v31 offset:5824
	v_lshlrev_b64 v[24:25], 4, v[24:25]
	v_add_co_u32 v20, vcc_lo, v0, v20
	v_add_co_ci_u32_e32 v21, vcc_lo, v1, v21, vcc_lo
	v_add_co_u32 v22, vcc_lo, v0, v22
	v_add_co_ci_u32_e32 v23, vcc_lo, v1, v23, vcc_lo
	;; [unrolled: 2-line block ×3, first 2 shown]
	s_waitcnt lgkmcnt(3)
	global_store_b128 v[18:19], v[2:5], off
	s_waitcnt lgkmcnt(2)
	global_store_b128 v[20:21], v[6:9], off
	;; [unrolled: 2-line block ×4, first 2 shown]
	v_lshlrev_b64 v[2:3], 4, v[26:27]
	v_dual_mov_b32 v11, v123 :: v_dual_add_nc_u32 v10, 0x1d4, v122
	v_dual_mov_b32 v13, v123 :: v_dual_add_nc_u32 v12, 0x208, v122
	;; [unrolled: 1-line block ×3, first 2 shown]
	s_delay_alu instid0(VALU_DEP_4)
	v_add_co_u32 v18, vcc_lo, v0, v2
	v_add_co_ci_u32_e32 v19, vcc_lo, v1, v3, vcc_lo
	ds_load_b128 v[2:5], v31 offset:6656
	ds_load_b128 v[6:9], v31 offset:7488
	v_lshlrev_b64 v[20:21], 4, v[10:11]
	v_lshlrev_b64 v[22:23], 4, v[12:13]
	ds_load_b128 v[10:13], v31 offset:8320
	ds_load_b128 v[14:17], v31 offset:9152
	v_lshlrev_b64 v[24:25], 4, v[24:25]
	v_add_nc_u32_e32 v26, 0x270, v122
	v_add_co_u32 v20, vcc_lo, v0, v20
	v_add_co_ci_u32_e32 v21, vcc_lo, v1, v21, vcc_lo
	v_add_co_u32 v22, vcc_lo, v0, v22
	v_add_co_ci_u32_e32 v23, vcc_lo, v1, v23, vcc_lo
	;; [unrolled: 2-line block ×3, first 2 shown]
	s_waitcnt lgkmcnt(3)
	global_store_b128 v[18:19], v[2:5], off
	s_waitcnt lgkmcnt(2)
	global_store_b128 v[20:21], v[6:9], off
	;; [unrolled: 2-line block ×4, first 2 shown]
	v_mov_b32_e32 v11, v123
	v_lshlrev_b64 v[2:3], 4, v[26:27]
	v_dual_mov_b32 v13, v123 :: v_dual_add_nc_u32 v10, 0x2a4, v122
	v_dual_mov_b32 v25, v123 :: v_dual_add_nc_u32 v12, 0x2d8, v122
	v_add_nc_u32_e32 v24, 0x30c, v122
	s_delay_alu instid0(VALU_DEP_4)
	v_add_co_u32 v18, vcc_lo, v0, v2
	v_add_co_ci_u32_e32 v19, vcc_lo, v1, v3, vcc_lo
	ds_load_b128 v[2:5], v31 offset:9984
	ds_load_b128 v[6:9], v31 offset:10816
	v_lshlrev_b64 v[20:21], 4, v[10:11]
	v_lshlrev_b64 v[22:23], 4, v[12:13]
	ds_load_b128 v[10:13], v31 offset:11648
	ds_load_b128 v[14:17], v31 offset:12480
	v_lshlrev_b64 v[24:25], 4, v[24:25]
	v_add_nc_u32_e32 v26, 0x340, v122
	v_add_co_u32 v20, vcc_lo, v0, v20
	v_add_co_ci_u32_e32 v21, vcc_lo, v1, v21, vcc_lo
	v_add_co_u32 v22, vcc_lo, v0, v22
	v_add_co_ci_u32_e32 v23, vcc_lo, v1, v23, vcc_lo
	;; [unrolled: 2-line block ×3, first 2 shown]
	s_waitcnt lgkmcnt(3)
	global_store_b128 v[18:19], v[2:5], off
	s_waitcnt lgkmcnt(2)
	global_store_b128 v[20:21], v[6:9], off
	;; [unrolled: 2-line block ×4, first 2 shown]
	v_dual_mov_b32 v13, v123 :: v_dual_add_nc_u32 v10, 0x374, v122
	v_mov_b32_e32 v19, v123
	v_mov_b32_e32 v11, v123
	v_lshlrev_b64 v[2:3], 4, v[26:27]
	v_add_nc_u32_e32 v12, 0x3a8, v122
	v_add_nc_u32_e32 v18, 0x3dc, v122
	s_delay_alu instid0(VALU_DEP_4) | instskip(NEXT) | instid1(VALU_DEP_4)
	v_lshlrev_b64 v[10:11], 4, v[10:11]
	v_add_co_u32 v22, vcc_lo, v0, v2
	v_add_co_ci_u32_e32 v23, vcc_lo, v1, v3, vcc_lo
	s_delay_alu instid0(VALU_DEP_3)
	v_add_co_u32 v24, vcc_lo, v0, v10
	ds_load_b128 v[2:5], v31 offset:13312
	ds_load_b128 v[6:9], v31 offset:14144
	v_add_co_ci_u32_e32 v25, vcc_lo, v1, v11, vcc_lo
	v_lshlrev_b64 v[26:27], 4, v[12:13]
	ds_load_b128 v[10:13], v31 offset:14976
	ds_load_b128 v[14:17], v31 offset:15808
	v_lshlrev_b64 v[28:29], 4, v[18:19]
	ds_load_b128 v[18:21], v31 offset:16640
	v_mov_b32_e32 v31, v123
	v_add_co_u32 v26, vcc_lo, v0, v26
	v_add_co_ci_u32_e32 v27, vcc_lo, v1, v27, vcc_lo
	s_delay_alu instid0(VALU_DEP_3) | instskip(SKIP_2) | instid1(VALU_DEP_3)
	v_lshlrev_b64 v[30:31], 4, v[30:31]
	v_add_co_u32 v28, vcc_lo, v0, v28
	v_add_co_ci_u32_e32 v29, vcc_lo, v1, v29, vcc_lo
	v_add_co_u32 v30, vcc_lo, v0, v30
	s_delay_alu instid0(VALU_DEP_4)
	v_add_co_ci_u32_e32 v31, vcc_lo, v1, v31, vcc_lo
	v_cmp_eq_u32_e32 vcc_lo, 51, v122
	s_waitcnt lgkmcnt(4)
	global_store_b128 v[22:23], v[2:5], off
	s_waitcnt lgkmcnt(3)
	global_store_b128 v[24:25], v[6:9], off
	;; [unrolled: 2-line block ×5, first 2 shown]
	s_and_b32 exec_lo, exec_lo, vcc_lo
	s_cbranch_execz .LBB0_32
; %bb.31:
	ds_load_b128 v[2:5], v123 offset:17472
	v_add_co_u32 v0, vcc_lo, 0x4000, v0
	v_add_co_ci_u32_e32 v1, vcc_lo, 0, v1, vcc_lo
	s_waitcnt lgkmcnt(0)
	global_store_b128 v[0:1], v[2:5], off offset:1088
.LBB0_32:
	s_nop 0
	s_sendmsg sendmsg(MSG_DEALLOC_VGPRS)
	s_endpgm
	.section	.rodata,"a",@progbits
	.p2align	6, 0x0
	.amdhsa_kernel fft_rtc_fwd_len1092_factors_2_2_13_7_3_wgs_52_tpt_52_halfLds_dp_op_CI_CI_unitstride_sbrr_R2C_dirReg
		.amdhsa_group_segment_fixed_size 0
		.amdhsa_private_segment_fixed_size 188
		.amdhsa_kernarg_size 104
		.amdhsa_user_sgpr_count 15
		.amdhsa_user_sgpr_dispatch_ptr 0
		.amdhsa_user_sgpr_queue_ptr 0
		.amdhsa_user_sgpr_kernarg_segment_ptr 1
		.amdhsa_user_sgpr_dispatch_id 0
		.amdhsa_user_sgpr_private_segment_size 0
		.amdhsa_wavefront_size32 1
		.amdhsa_uses_dynamic_stack 0
		.amdhsa_enable_private_segment 1
		.amdhsa_system_sgpr_workgroup_id_x 1
		.amdhsa_system_sgpr_workgroup_id_y 0
		.amdhsa_system_sgpr_workgroup_id_z 0
		.amdhsa_system_sgpr_workgroup_info 0
		.amdhsa_system_vgpr_workitem_id 0
		.amdhsa_next_free_vgpr 256
		.amdhsa_next_free_sgpr 46
		.amdhsa_reserve_vcc 1
		.amdhsa_float_round_mode_32 0
		.amdhsa_float_round_mode_16_64 0
		.amdhsa_float_denorm_mode_32 3
		.amdhsa_float_denorm_mode_16_64 3
		.amdhsa_dx10_clamp 1
		.amdhsa_ieee_mode 1
		.amdhsa_fp16_overflow 0
		.amdhsa_workgroup_processor_mode 1
		.amdhsa_memory_ordered 1
		.amdhsa_forward_progress 0
		.amdhsa_shared_vgpr_count 0
		.amdhsa_exception_fp_ieee_invalid_op 0
		.amdhsa_exception_fp_denorm_src 0
		.amdhsa_exception_fp_ieee_div_zero 0
		.amdhsa_exception_fp_ieee_overflow 0
		.amdhsa_exception_fp_ieee_underflow 0
		.amdhsa_exception_fp_ieee_inexact 0
		.amdhsa_exception_int_div_zero 0
	.end_amdhsa_kernel
	.text
.Lfunc_end0:
	.size	fft_rtc_fwd_len1092_factors_2_2_13_7_3_wgs_52_tpt_52_halfLds_dp_op_CI_CI_unitstride_sbrr_R2C_dirReg, .Lfunc_end0-fft_rtc_fwd_len1092_factors_2_2_13_7_3_wgs_52_tpt_52_halfLds_dp_op_CI_CI_unitstride_sbrr_R2C_dirReg
                                        ; -- End function
	.section	.AMDGPU.csdata,"",@progbits
; Kernel info:
; codeLenInByte = 24300
; NumSgprs: 48
; NumVgprs: 256
; ScratchSize: 188
; MemoryBound: 0
; FloatMode: 240
; IeeeMode: 1
; LDSByteSize: 0 bytes/workgroup (compile time only)
; SGPRBlocks: 5
; VGPRBlocks: 31
; NumSGPRsForWavesPerEU: 48
; NumVGPRsForWavesPerEU: 256
; Occupancy: 5
; WaveLimiterHint : 1
; COMPUTE_PGM_RSRC2:SCRATCH_EN: 1
; COMPUTE_PGM_RSRC2:USER_SGPR: 15
; COMPUTE_PGM_RSRC2:TRAP_HANDLER: 0
; COMPUTE_PGM_RSRC2:TGID_X_EN: 1
; COMPUTE_PGM_RSRC2:TGID_Y_EN: 0
; COMPUTE_PGM_RSRC2:TGID_Z_EN: 0
; COMPUTE_PGM_RSRC2:TIDIG_COMP_CNT: 0
	.text
	.p2alignl 7, 3214868480
	.fill 96, 4, 3214868480
	.type	__hip_cuid_17ecb75615b4ed4c,@object ; @__hip_cuid_17ecb75615b4ed4c
	.section	.bss,"aw",@nobits
	.globl	__hip_cuid_17ecb75615b4ed4c
__hip_cuid_17ecb75615b4ed4c:
	.byte	0                               ; 0x0
	.size	__hip_cuid_17ecb75615b4ed4c, 1

	.ident	"AMD clang version 19.0.0git (https://github.com/RadeonOpenCompute/llvm-project roc-6.4.0 25133 c7fe45cf4b819c5991fe208aaa96edf142730f1d)"
	.section	".note.GNU-stack","",@progbits
	.addrsig
	.addrsig_sym __hip_cuid_17ecb75615b4ed4c
	.amdgpu_metadata
---
amdhsa.kernels:
  - .args:
      - .actual_access:  read_only
        .address_space:  global
        .offset:         0
        .size:           8
        .value_kind:     global_buffer
      - .offset:         8
        .size:           8
        .value_kind:     by_value
      - .actual_access:  read_only
        .address_space:  global
        .offset:         16
        .size:           8
        .value_kind:     global_buffer
      - .actual_access:  read_only
        .address_space:  global
        .offset:         24
        .size:           8
        .value_kind:     global_buffer
      - .actual_access:  read_only
        .address_space:  global
        .offset:         32
        .size:           8
        .value_kind:     global_buffer
      - .offset:         40
        .size:           8
        .value_kind:     by_value
      - .actual_access:  read_only
        .address_space:  global
        .offset:         48
        .size:           8
        .value_kind:     global_buffer
      - .actual_access:  read_only
        .address_space:  global
        .offset:         56
        .size:           8
        .value_kind:     global_buffer
      - .offset:         64
        .size:           4
        .value_kind:     by_value
      - .actual_access:  read_only
        .address_space:  global
        .offset:         72
        .size:           8
        .value_kind:     global_buffer
      - .actual_access:  read_only
        .address_space:  global
        .offset:         80
        .size:           8
        .value_kind:     global_buffer
      - .actual_access:  read_only
        .address_space:  global
        .offset:         88
        .size:           8
        .value_kind:     global_buffer
      - .actual_access:  write_only
        .address_space:  global
        .offset:         96
        .size:           8
        .value_kind:     global_buffer
    .group_segment_fixed_size: 0
    .kernarg_segment_align: 8
    .kernarg_segment_size: 104
    .language:       OpenCL C
    .language_version:
      - 2
      - 0
    .max_flat_workgroup_size: 52
    .name:           fft_rtc_fwd_len1092_factors_2_2_13_7_3_wgs_52_tpt_52_halfLds_dp_op_CI_CI_unitstride_sbrr_R2C_dirReg
    .private_segment_fixed_size: 188
    .sgpr_count:     48
    .sgpr_spill_count: 0
    .symbol:         fft_rtc_fwd_len1092_factors_2_2_13_7_3_wgs_52_tpt_52_halfLds_dp_op_CI_CI_unitstride_sbrr_R2C_dirReg.kd
    .uniform_work_group_size: 1
    .uses_dynamic_stack: false
    .vgpr_count:     256
    .vgpr_spill_count: 70
    .wavefront_size: 32
    .workgroup_processor_mode: 1
amdhsa.target:   amdgcn-amd-amdhsa--gfx1100
amdhsa.version:
  - 1
  - 2
...

	.end_amdgpu_metadata
